;; amdgpu-corpus repo=ROCm/rocFFT kind=compiled arch=gfx906 opt=O3
	.text
	.amdgcn_target "amdgcn-amd-amdhsa--gfx906"
	.amdhsa_code_object_version 6
	.protected	fft_rtc_fwd_len165_factors_11_5_3_wgs_55_tpt_11_half_ip_CI_sbrr_dirReg ; -- Begin function fft_rtc_fwd_len165_factors_11_5_3_wgs_55_tpt_11_half_ip_CI_sbrr_dirReg
	.globl	fft_rtc_fwd_len165_factors_11_5_3_wgs_55_tpt_11_half_ip_CI_sbrr_dirReg
	.p2align	8
	.type	fft_rtc_fwd_len165_factors_11_5_3_wgs_55_tpt_11_half_ip_CI_sbrr_dirReg,@function
fft_rtc_fwd_len165_factors_11_5_3_wgs_55_tpt_11_half_ip_CI_sbrr_dirReg: ; @fft_rtc_fwd_len165_factors_11_5_3_wgs_55_tpt_11_half_ip_CI_sbrr_dirReg
; %bb.0:
	s_load_dwordx2 s[14:15], s[4:5], 0x18
	s_load_dwordx4 s[8:11], s[4:5], 0x0
	s_load_dwordx2 s[12:13], s[4:5], 0x50
	v_mul_u32_u24_e32 v1, 0x1746, v0
	v_lshrrev_b32_e32 v1, 16, v1
	s_waitcnt lgkmcnt(0)
	s_load_dwordx2 s[2:3], s[14:15], 0x0
	v_mad_u64_u32 v[1:2], s[0:1], s6, 5, v[1:2]
	v_mov_b32_e32 v5, 0
	v_cmp_lt_u64_e64 s[0:1], s[10:11], 2
	v_mov_b32_e32 v2, v5
	v_mov_b32_e32 v3, 0
	;; [unrolled: 1-line block ×3, first 2 shown]
	s_and_b64 vcc, exec, s[0:1]
	v_mov_b32_e32 v4, 0
	v_mov_b32_e32 v9, v1
	s_cbranch_vccnz .LBB0_8
; %bb.1:
	s_load_dwordx2 s[0:1], s[4:5], 0x10
	s_add_u32 s6, s14, 8
	s_addc_u32 s7, s15, 0
	v_mov_b32_e32 v3, 0
	v_mov_b32_e32 v8, v2
	s_waitcnt lgkmcnt(0)
	s_add_u32 s18, s0, 8
	s_mov_b64 s[16:17], 1
	v_mov_b32_e32 v4, 0
	s_addc_u32 s19, s1, 0
	v_mov_b32_e32 v7, v1
.LBB0_2:                                ; =>This Inner Loop Header: Depth=1
	s_load_dwordx2 s[20:21], s[18:19], 0x0
                                        ; implicit-def: $vgpr9_vgpr10
	s_waitcnt lgkmcnt(0)
	v_or_b32_e32 v6, s21, v8
	v_cmp_ne_u64_e32 vcc, 0, v[5:6]
	s_and_saveexec_b64 s[0:1], vcc
	s_xor_b64 s[22:23], exec, s[0:1]
	s_cbranch_execz .LBB0_4
; %bb.3:                                ;   in Loop: Header=BB0_2 Depth=1
	v_cvt_f32_u32_e32 v2, s20
	v_cvt_f32_u32_e32 v6, s21
	s_sub_u32 s0, 0, s20
	s_subb_u32 s1, 0, s21
	v_mac_f32_e32 v2, 0x4f800000, v6
	v_rcp_f32_e32 v2, v2
	v_mul_f32_e32 v2, 0x5f7ffffc, v2
	v_mul_f32_e32 v6, 0x2f800000, v2
	v_trunc_f32_e32 v6, v6
	v_mac_f32_e32 v2, 0xcf800000, v6
	v_cvt_u32_f32_e32 v6, v6
	v_cvt_u32_f32_e32 v2, v2
	v_mul_lo_u32 v9, s0, v6
	v_mul_hi_u32 v10, s0, v2
	v_mul_lo_u32 v12, s1, v2
	v_mul_lo_u32 v11, s0, v2
	v_add_u32_e32 v9, v10, v9
	v_add_u32_e32 v9, v9, v12
	v_mul_hi_u32 v10, v2, v11
	v_mul_lo_u32 v12, v2, v9
	v_mul_hi_u32 v14, v2, v9
	v_mul_hi_u32 v13, v6, v11
	v_mul_lo_u32 v11, v6, v11
	v_mul_hi_u32 v15, v6, v9
	v_add_co_u32_e32 v10, vcc, v10, v12
	v_addc_co_u32_e32 v12, vcc, 0, v14, vcc
	v_mul_lo_u32 v9, v6, v9
	v_add_co_u32_e32 v10, vcc, v10, v11
	v_addc_co_u32_e32 v10, vcc, v12, v13, vcc
	v_addc_co_u32_e32 v11, vcc, 0, v15, vcc
	v_add_co_u32_e32 v9, vcc, v10, v9
	v_addc_co_u32_e32 v10, vcc, 0, v11, vcc
	v_add_co_u32_e32 v2, vcc, v2, v9
	v_addc_co_u32_e32 v6, vcc, v6, v10, vcc
	v_mul_lo_u32 v9, s0, v6
	v_mul_hi_u32 v10, s0, v2
	v_mul_lo_u32 v11, s1, v2
	v_mul_lo_u32 v12, s0, v2
	v_add_u32_e32 v9, v10, v9
	v_add_u32_e32 v9, v9, v11
	v_mul_lo_u32 v13, v2, v9
	v_mul_hi_u32 v14, v2, v12
	v_mul_hi_u32 v15, v2, v9
	;; [unrolled: 1-line block ×3, first 2 shown]
	v_mul_lo_u32 v12, v6, v12
	v_mul_hi_u32 v10, v6, v9
	v_add_co_u32_e32 v13, vcc, v14, v13
	v_addc_co_u32_e32 v14, vcc, 0, v15, vcc
	v_mul_lo_u32 v9, v6, v9
	v_add_co_u32_e32 v12, vcc, v13, v12
	v_addc_co_u32_e32 v11, vcc, v14, v11, vcc
	v_addc_co_u32_e32 v10, vcc, 0, v10, vcc
	v_add_co_u32_e32 v9, vcc, v11, v9
	v_addc_co_u32_e32 v10, vcc, 0, v10, vcc
	v_add_co_u32_e32 v2, vcc, v2, v9
	v_addc_co_u32_e32 v6, vcc, v6, v10, vcc
	v_mad_u64_u32 v[9:10], s[0:1], v7, v6, 0
	v_mul_hi_u32 v11, v7, v2
	v_add_co_u32_e32 v13, vcc, v11, v9
	v_addc_co_u32_e32 v14, vcc, 0, v10, vcc
	v_mad_u64_u32 v[9:10], s[0:1], v8, v2, 0
	v_mad_u64_u32 v[11:12], s[0:1], v8, v6, 0
	v_add_co_u32_e32 v2, vcc, v13, v9
	v_addc_co_u32_e32 v2, vcc, v14, v10, vcc
	v_addc_co_u32_e32 v6, vcc, 0, v12, vcc
	v_add_co_u32_e32 v2, vcc, v2, v11
	v_addc_co_u32_e32 v6, vcc, 0, v6, vcc
	v_mul_lo_u32 v11, s21, v2
	v_mul_lo_u32 v12, s20, v6
	v_mad_u64_u32 v[9:10], s[0:1], s20, v2, 0
	v_add3_u32 v10, v10, v12, v11
	v_sub_u32_e32 v11, v8, v10
	v_mov_b32_e32 v12, s21
	v_sub_co_u32_e32 v9, vcc, v7, v9
	v_subb_co_u32_e64 v11, s[0:1], v11, v12, vcc
	v_subrev_co_u32_e64 v12, s[0:1], s20, v9
	v_subbrev_co_u32_e64 v11, s[0:1], 0, v11, s[0:1]
	v_cmp_le_u32_e64 s[0:1], s21, v11
	v_cndmask_b32_e64 v13, 0, -1, s[0:1]
	v_cmp_le_u32_e64 s[0:1], s20, v12
	v_cndmask_b32_e64 v12, 0, -1, s[0:1]
	v_cmp_eq_u32_e64 s[0:1], s21, v11
	v_cndmask_b32_e64 v11, v13, v12, s[0:1]
	v_add_co_u32_e64 v12, s[0:1], 2, v2
	v_addc_co_u32_e64 v13, s[0:1], 0, v6, s[0:1]
	v_add_co_u32_e64 v14, s[0:1], 1, v2
	v_addc_co_u32_e64 v15, s[0:1], 0, v6, s[0:1]
	v_subb_co_u32_e32 v10, vcc, v8, v10, vcc
	v_cmp_ne_u32_e64 s[0:1], 0, v11
	v_cmp_le_u32_e32 vcc, s21, v10
	v_cndmask_b32_e64 v11, v15, v13, s[0:1]
	v_cndmask_b32_e64 v13, 0, -1, vcc
	v_cmp_le_u32_e32 vcc, s20, v9
	v_cndmask_b32_e64 v9, 0, -1, vcc
	v_cmp_eq_u32_e32 vcc, s21, v10
	v_cndmask_b32_e32 v9, v13, v9, vcc
	v_cmp_ne_u32_e32 vcc, 0, v9
	v_cndmask_b32_e32 v10, v6, v11, vcc
	v_cndmask_b32_e64 v6, v14, v12, s[0:1]
	v_cndmask_b32_e32 v9, v2, v6, vcc
.LBB0_4:                                ;   in Loop: Header=BB0_2 Depth=1
	s_andn2_saveexec_b64 s[0:1], s[22:23]
	s_cbranch_execz .LBB0_6
; %bb.5:                                ;   in Loop: Header=BB0_2 Depth=1
	v_cvt_f32_u32_e32 v2, s20
	s_sub_i32 s22, 0, s20
	v_rcp_iflag_f32_e32 v2, v2
	v_mul_f32_e32 v2, 0x4f7ffffe, v2
	v_cvt_u32_f32_e32 v2, v2
	v_mul_lo_u32 v6, s22, v2
	v_mul_hi_u32 v6, v2, v6
	v_add_u32_e32 v2, v2, v6
	v_mul_hi_u32 v2, v7, v2
	v_mul_lo_u32 v6, v2, s20
	v_add_u32_e32 v9, 1, v2
	v_sub_u32_e32 v6, v7, v6
	v_subrev_u32_e32 v10, s20, v6
	v_cmp_le_u32_e32 vcc, s20, v6
	v_cndmask_b32_e32 v6, v6, v10, vcc
	v_cndmask_b32_e32 v2, v2, v9, vcc
	v_add_u32_e32 v9, 1, v2
	v_cmp_le_u32_e32 vcc, s20, v6
	v_cndmask_b32_e32 v9, v2, v9, vcc
	v_mov_b32_e32 v10, v5
.LBB0_6:                                ;   in Loop: Header=BB0_2 Depth=1
	s_or_b64 exec, exec, s[0:1]
	v_mul_lo_u32 v2, v10, s20
	v_mul_lo_u32 v6, v9, s21
	v_mad_u64_u32 v[11:12], s[0:1], v9, s20, 0
	s_load_dwordx2 s[0:1], s[6:7], 0x0
	s_add_u32 s16, s16, 1
	v_add3_u32 v2, v12, v6, v2
	v_sub_co_u32_e32 v6, vcc, v7, v11
	v_subb_co_u32_e32 v2, vcc, v8, v2, vcc
	s_waitcnt lgkmcnt(0)
	v_mul_lo_u32 v2, s0, v2
	v_mul_lo_u32 v7, s1, v6
	v_mad_u64_u32 v[3:4], s[0:1], s0, v6, v[3:4]
	s_addc_u32 s17, s17, 0
	s_add_u32 s6, s6, 8
	v_add3_u32 v4, v7, v4, v2
	v_mov_b32_e32 v6, s10
	v_mov_b32_e32 v7, s11
	s_addc_u32 s7, s7, 0
	v_cmp_ge_u64_e32 vcc, s[16:17], v[6:7]
	s_add_u32 s18, s18, 8
	s_addc_u32 s19, s19, 0
	s_cbranch_vccnz .LBB0_8
; %bb.7:                                ;   in Loop: Header=BB0_2 Depth=1
	v_mov_b32_e32 v7, v9
	v_mov_b32_e32 v8, v10
	s_branch .LBB0_2
.LBB0_8:
	s_lshl_b64 s[0:1], s[10:11], 3
	s_add_u32 s0, s14, s0
	s_addc_u32 s1, s15, s1
	s_load_dwordx2 s[0:1], s[0:1], 0x0
	s_mov_b32 s6, 0xcccccccd
	v_mul_hi_u32 v5, v1, s6
                                        ; implicit-def: $vgpr32
	s_waitcnt lgkmcnt(0)
	v_mul_lo_u32 v6, s0, v10
	v_mul_lo_u32 v7, s1, v9
	v_mad_u64_u32 v[2:3], s[0:1], s0, v9, v[3:4]
	s_load_dwordx2 s[0:1], s[4:5], 0x20
	s_mov_b32 s4, 0x1745d175
	v_lshrrev_b32_e32 v4, 2, v5
	v_mul_hi_u32 v5, v0, s4
	v_lshl_add_u32 v4, v4, 2, v4
	v_sub_u32_e32 v1, v1, v4
	s_waitcnt lgkmcnt(0)
	v_cmp_gt_u64_e32 vcc, s[0:1], v[9:10]
	v_mul_u32_u24_e32 v4, 11, v5
	v_cmp_le_u64_e64 s[0:1], s[0:1], v[9:10]
	v_sub_u32_e32 v23, v0, v4
	v_add3_u32 v3, v7, v3, v6
	v_add_u32_e32 v27, 11, v23
	s_and_saveexec_b64 s[4:5], s[0:1]
	s_xor_b64 s[0:1], exec, s[4:5]
; %bb.9:
	v_add_u32_e32 v32, 11, v23
; %bb.10:
	s_or_saveexec_b64 s[4:5], s[0:1]
	v_mul_u32_u24_e32 v4, 0xa5, v1
	v_lshlrev_b64 v[0:1], 2, v[2:3]
	v_lshlrev_b32_e32 v30, 2, v4
	v_lshlrev_b32_e32 v2, 2, v23
	v_add_u32_e32 v28, 22, v23
	v_add_u32_e32 v26, 33, v23
	;; [unrolled: 1-line block ×4, first 2 shown]
	s_xor_b64 exec, exec, s[4:5]
	s_cbranch_execz .LBB0_12
; %bb.11:
	v_mad_u64_u32 v[3:4], s[0:1], s2, v23, 0
	v_mov_b32_e32 v7, s13
	v_add_u32_e32 v17, 0x42, v23
	v_mad_u64_u32 v[4:5], s[0:1], s3, v23, v[4:5]
	v_mad_u64_u32 v[5:6], s[0:1], s2, v27, 0
	v_add_co_u32_e64 v43, s[0:1], s12, v0
	v_addc_co_u32_e64 v44, s[0:1], v7, v1, s[0:1]
	v_mad_u64_u32 v[6:7], s[0:1], s3, v27, v[6:7]
	v_mad_u64_u32 v[7:8], s[0:1], s2, v28, 0
	v_lshlrev_b64 v[3:4], 2, v[3:4]
	v_lshlrev_b64 v[5:6], 2, v[5:6]
	v_add_co_u32_e64 v3, s[0:1], v43, v3
	v_addc_co_u32_e64 v4, s[0:1], v44, v4, s[0:1]
	v_mad_u64_u32 v[8:9], s[0:1], s3, v28, v[8:9]
	v_mad_u64_u32 v[9:10], s[0:1], s2, v26, 0
	v_add_co_u32_e64 v5, s[0:1], v43, v5
	v_addc_co_u32_e64 v6, s[0:1], v44, v6, s[0:1]
	v_mad_u64_u32 v[10:11], s[0:1], s3, v26, v[10:11]
	v_mad_u64_u32 v[11:12], s[0:1], s2, v25, 0
	v_lshlrev_b64 v[7:8], 2, v[7:8]
	v_lshlrev_b64 v[9:10], 2, v[9:10]
	v_add_co_u32_e64 v7, s[0:1], v43, v7
	v_addc_co_u32_e64 v8, s[0:1], v44, v8, s[0:1]
	v_mad_u64_u32 v[12:13], s[0:1], s3, v25, v[12:13]
	v_mad_u64_u32 v[13:14], s[0:1], s2, v24, 0
	v_add_co_u32_e64 v9, s[0:1], v43, v9
	v_addc_co_u32_e64 v10, s[0:1], v44, v10, s[0:1]
	v_mad_u64_u32 v[14:15], s[0:1], s3, v24, v[14:15]
	v_mad_u64_u32 v[15:16], s[0:1], s2, v17, 0
	v_lshlrev_b64 v[11:12], 2, v[11:12]
	v_add_u32_e32 v19, 0x4d, v23
	v_add_co_u32_e64 v11, s[0:1], v43, v11
	v_addc_co_u32_e64 v12, s[0:1], v44, v12, s[0:1]
	v_mad_u64_u32 v[16:17], s[0:1], s3, v17, v[16:17]
	v_mad_u64_u32 v[17:18], s[0:1], s2, v19, 0
	v_lshlrev_b64 v[13:14], 2, v[13:14]
	v_add_u32_e32 v21, 0x58, v23
	;; [unrolled: 6-line block ×5, first 2 shown]
	v_add_co_u32_e64 v19, s[0:1], v43, v19
	v_mov_b32_e32 v29, v33
	v_addc_co_u32_e64 v20, s[0:1], v44, v20, s[0:1]
	v_mad_u64_u32 v[33:34], s[0:1], s3, v34, v[29:30]
	v_mad_u64_u32 v[34:35], s[0:1], s2, v36, 0
	v_mov_b32_e32 v22, v31
	v_lshlrev_b64 v[21:22], 2, v[21:22]
	v_mov_b32_e32 v29, v35
	v_add_co_u32_e64 v21, s[0:1], v43, v21
	v_addc_co_u32_e64 v22, s[0:1], v44, v22, s[0:1]
	v_mad_u64_u32 v[35:36], s[0:1], s3, v36, v[29:30]
	v_add_u32_e32 v38, 0x84, v23
	v_mad_u64_u32 v[36:37], s[0:1], s2, v38, 0
	v_lshlrev_b64 v[31:32], 2, v[32:33]
	v_add_u32_e32 v40, 0x8f, v23
	v_add_co_u32_e64 v31, s[0:1], v43, v31
	v_mov_b32_e32 v29, v37
	v_addc_co_u32_e64 v32, s[0:1], v44, v32, s[0:1]
	v_mad_u64_u32 v[37:38], s[0:1], s3, v38, v[29:30]
	v_mad_u64_u32 v[38:39], s[0:1], s2, v40, 0
	v_lshlrev_b64 v[33:34], 2, v[34:35]
	v_add_u32_e32 v42, 0x9a, v23
	v_add_co_u32_e64 v33, s[0:1], v43, v33
	v_mov_b32_e32 v29, v39
	v_addc_co_u32_e64 v34, s[0:1], v44, v34, s[0:1]
	v_mad_u64_u32 v[39:40], s[0:1], s3, v40, v[29:30]
	v_mad_u64_u32 v[40:41], s[0:1], s2, v42, 0
	v_lshlrev_b64 v[35:36], 2, v[36:37]
	v_lshlrev_b64 v[37:38], 2, v[38:39]
	v_add_co_u32_e64 v35, s[0:1], v43, v35
	v_mov_b32_e32 v29, v41
	v_addc_co_u32_e64 v36, s[0:1], v44, v36, s[0:1]
	v_mad_u64_u32 v[41:42], s[0:1], s3, v42, v[29:30]
	v_add_co_u32_e64 v37, s[0:1], v43, v37
	v_lshlrev_b64 v[39:40], 2, v[40:41]
	v_addc_co_u32_e64 v38, s[0:1], v44, v38, s[0:1]
	v_add_co_u32_e64 v39, s[0:1], v43, v39
	v_addc_co_u32_e64 v40, s[0:1], v44, v40, s[0:1]
	global_load_dword v29, v[3:4], off
	global_load_dword v41, v[5:6], off
	;; [unrolled: 1-line block ×15, first 2 shown]
	v_add3_u32 v3, 0, v30, v2
	v_mov_b32_e32 v32, v27
	s_waitcnt vmcnt(13)
	ds_write2_b32 v3, v29, v41 offset1:11
	s_waitcnt vmcnt(11)
	ds_write2_b32 v3, v42, v43 offset0:22 offset1:33
	s_waitcnt vmcnt(9)
	ds_write2_b32 v3, v44, v45 offset0:44 offset1:55
	;; [unrolled: 2-line block ×6, first 2 shown]
	s_waitcnt vmcnt(0)
	ds_write_b32 v3, v54 offset:616
.LBB0_12:
	s_or_b64 exec, exec, s[4:5]
	v_add_u32_e32 v3, 0, v2
	v_add_u32_e32 v34, 0, v30
	;; [unrolled: 1-line block ×3, first 2 shown]
	s_waitcnt lgkmcnt(0)
	; wave barrier
	s_waitcnt lgkmcnt(0)
	v_add_u32_e32 v29, v34, v2
	ds_read2_b32 v[3:4], v31 offset0:11 offset1:15
	ds_read2_b32 v[15:16], v31 offset0:26 offset1:30
	;; [unrolled: 1-line block ×7, first 2 shown]
	ds_read_b32 v33, v31 offset:644
	ds_read_b32 v36, v29
	ds_read2_b32 v[17:18], v31 offset0:116 offset1:120
	ds_read2_b32 v[19:20], v31 offset0:131 offset1:135
	;; [unrolled: 1-line block ×3, first 2 shown]
	s_mov_b32 s17, 0xb853
	s_waitcnt lgkmcnt(3)
	v_pk_add_f16 v35, v36, v4
	v_pk_add_f16 v35, v35, v16
	;; [unrolled: 1-line block ×7, first 2 shown]
	s_waitcnt lgkmcnt(2)
	v_pk_add_f16 v35, v35, v18
	s_waitcnt lgkmcnt(0)
	v_pk_add_f16 v37, v22, v4
	v_pk_add_f16 v4, v4, v22 neg_lo:[0,1] neg_hi:[0,1]
	v_pk_add_f16 v35, v35, v20
	v_lshrrev_b32_e32 v43, 16, v37
	v_mul_f16_e32 v44, 0xbb47, v4
	s_movk_i32 s11, 0x36a6
	s_mov_b32 s15, 0xb08e
	v_mul_f16_e32 v48, 0xbbeb, v4
	s_mov_b32 s16, 0xb93d
	v_mul_f16_e32 v52, 0xba0c, v4
	v_pk_add_f16 v35, v35, v22
	v_mul_f16_sdwa v22, v4, s17 dst_sel:DWORD dst_unused:UNUSED_PAD src0_sel:WORD_1 src1_sel:DWORD
	s_movk_i32 s7, 0x3abb
	s_mov_b32 s19, 0xbb47
	v_fma_f16 v45, v43, s11, v44
	v_fma_f16 v44, v43, s11, -v44
	v_fma_f16 v49, v43, s15, v48
	v_fma_f16 v48, v43, s15, -v48
	;; [unrolled: 2-line block ×3, first 2 shown]
	v_pk_add_f16 v52, v20, v16
	v_pk_add_f16 v16, v16, v20 neg_lo:[0,1] neg_hi:[0,1]
	v_fma_f16 v38, v37, s7, -v22
	v_fma_f16 v22, v37, s7, v22
	s_mov_b32 s20, 0x3abb36a6
	v_mul_f16_sdwa v20, v16, s19 dst_sel:DWORD dst_unused:UNUSED_PAD src0_sel:WORD_1 src1_sel:DWORD
	v_add_f16_e32 v22, v36, v22
	v_pk_mul_f16 v39, v37, s20
	s_mov_b32 s21, 0xbb47b853
	v_fma_f16 v54, v52, s11, -v20
	v_fma_f16 v20, v52, s11, v20
	s_mov_b32 s23, 0x36a6b93d
	v_add_f16_e32 v38, v36, v38
	v_pk_fma_f16 v40, v4, s21, v39 op_sel:[0,0,1] op_sel_hi:[1,1,0] neg_lo:[1,0,0] neg_hi:[1,0,0]
	v_pk_fma_f16 v39, v4, s21, v39 op_sel:[0,0,1] op_sel_hi:[1,1,0]
	s_mov_b32 s6, 0xffff
	v_add_f16_e32 v20, v20, v22
	v_pk_mul_f16 v22, v52, s23
	s_mov_b32 s24, 0xba0cbb47
	v_bfi_b32 v42, s6, v39, v40
	v_add_f16_e32 v38, v54, v38
	v_pk_fma_f16 v54, v16, s24, v22 op_sel:[0,0,1] op_sel_hi:[1,1,0] neg_lo:[1,0,0] neg_hi:[1,0,0]
	v_pk_fma_f16 v22, v16, s24, v22 op_sel:[0,0,1] op_sel_hi:[1,1,0]
	v_pk_add_f16 v42, v36, v42 op_sel:[1,0] op_sel_hi:[0,1]
	v_alignbit_b32 v39, s0, v39, 16
	v_bfi_b32 v55, s6, v22, v54
	v_pk_add_f16 v39, v36, v39
	s_mov_b32 s10, 0xbbeb
	v_pk_add_f16 v42, v55, v42
	v_lshrrev_b32_e32 v55, 16, v52
	v_mul_f16_e32 v56, 0xba0c, v16
	v_alignbit_b32 v22, s0, v22, 16
	v_add_f16_sdwa v44, v36, v44 dst_sel:DWORD dst_unused:UNUSED_PAD src0_sel:WORD_1 src1_sel:DWORD
	v_mul_f16_sdwa v46, v4, s10 dst_sel:DWORD dst_unused:UNUSED_PAD src0_sel:WORD_1 src1_sel:DWORD
	v_pk_add_f16 v22, v22, v39
	v_fma_f16 v39, v55, s16, -v56
	s_movk_i32 s26, 0x3482
	v_fma_f16 v47, v37, s15, -v46
	v_add_f16_e32 v39, v39, v44
	v_mul_f16_sdwa v44, v16, s26 dst_sel:DWORD dst_unused:UNUSED_PAD src0_sel:WORD_1 src1_sel:DWORD
	s_mov_b32 s18, 0xbbad
	v_add_f16_e32 v47, v36, v47
	v_fma_f16 v46, v37, s15, v46
	v_fma_f16 v57, v55, s16, v56
	v_fma_f16 v56, v52, s18, -v44
	v_add_f16_e32 v46, v36, v46
	s_mov_b32 s14, 0xba0c
	v_add_f16_e32 v47, v56, v47
	v_mul_f16_e32 v56, 0x3482, v16
	v_fma_f16 v44, v52, s18, v44
	v_add_f16_sdwa v48, v36, v48 dst_sel:DWORD dst_unused:UNUSED_PAD src0_sel:WORD_1 src1_sel:DWORD
	v_mul_f16_sdwa v50, v4, s14 dst_sel:DWORD dst_unused:UNUSED_PAD src0_sel:WORD_1 src1_sel:DWORD
	v_add_f16_e32 v44, v44, v46
	v_fma_f16 v46, v55, s18, -v56
	s_movk_i32 s30, 0x3beb
	v_add_f16_sdwa v45, v36, v45 dst_sel:DWORD dst_unused:UNUSED_PAD src0_sel:WORD_1 src1_sel:DWORD
	v_fma_f16 v51, v37, s16, -v50
	v_add_f16_e32 v46, v46, v48
	v_mul_f16_sdwa v48, v16, s30 dst_sel:DWORD dst_unused:UNUSED_PAD src0_sel:WORD_1 src1_sel:DWORD
	v_add_f16_e32 v51, v36, v51
	v_fma_f16 v50, v37, s16, v50
	v_add_f16_e32 v45, v57, v45
	v_fma_f16 v57, v55, s18, v56
	v_fma_f16 v56, v52, s15, -v48
	v_add_f16_e32 v50, v36, v50
	v_add_f16_e32 v51, v56, v51
	v_mul_f16_e32 v56, 0x3beb, v16
	v_fma_f16 v48, v52, s15, v48
	v_add_f16_sdwa v43, v36, v43 dst_sel:DWORD dst_unused:UNUSED_PAD src0_sel:WORD_1 src1_sel:DWORD
	v_add_f16_e32 v48, v48, v50
	v_fma_f16 v50, v55, s15, -v56
	v_add_f16_e32 v43, v50, v43
	v_pk_add_f16 v50, v18, v14
	v_pk_add_f16 v14, v14, v18 neg_lo:[0,1] neg_hi:[0,1]
	v_add_f16_sdwa v49, v36, v49 dst_sel:DWORD dst_unused:UNUSED_PAD src0_sel:WORD_1 src1_sel:DWORD
	v_mul_f16_sdwa v18, v14, s10 dst_sel:DWORD dst_unused:UNUSED_PAD src0_sel:WORD_1 src1_sel:DWORD
	v_add_f16_e32 v49, v57, v49
	v_fma_f16 v57, v55, s15, v56
	v_fma_f16 v55, v50, s15, -v18
	v_fma_f16 v18, v50, s15, v18
	s_mov_b32 s27, 0xb08ebbad
	v_add_f16_e32 v18, v18, v20
	v_pk_mul_f16 v20, v50, s27
	s_mov_b32 s28, 0x3482bbeb
	v_add_f16_e32 v38, v55, v38
	v_pk_fma_f16 v55, v14, s28, v20 op_sel:[0,0,1] op_sel_hi:[1,1,0] neg_lo:[1,0,0] neg_hi:[1,0,0]
	v_pk_fma_f16 v20, v14, s28, v20 op_sel:[0,0,1] op_sel_hi:[1,1,0]
	v_add_f16_sdwa v53, v36, v53 dst_sel:DWORD dst_unused:UNUSED_PAD src0_sel:WORD_1 src1_sel:DWORD
	v_bfi_b32 v56, s6, v20, v55
	v_add_f16_e32 v53, v57, v53
	v_pk_add_f16 v42, v56, v42
	v_lshrrev_b32_e32 v56, 16, v50
	v_mul_f16_e32 v57, 0x3482, v14
	v_alignbit_b32 v20, s0, v20, 16
	v_pk_add_f16 v20, v20, v22
	v_fma_f16 v22, v56, s18, -v57
	s_movk_i32 s22, 0x3b47
	v_add_f16_e32 v22, v22, v39
	v_mul_f16_sdwa v39, v14, s22 dst_sel:DWORD dst_unused:UNUSED_PAD src0_sel:WORD_1 src1_sel:DWORD
	v_fma_f16 v58, v56, s18, v57
	v_fma_f16 v57, v50, s11, -v39
	v_add_f16_e32 v47, v57, v47
	v_mul_f16_e32 v57, 0x3b47, v14
	v_fma_f16 v39, v50, s11, v39
	v_add_f16_e32 v39, v39, v44
	v_fma_f16 v44, v56, s11, -v57
	v_add_f16_e32 v44, v44, v46
	v_mul_f16_sdwa v46, v14, s17 dst_sel:DWORD dst_unused:UNUSED_PAD src0_sel:WORD_1 src1_sel:DWORD
	v_add_f16_e32 v45, v58, v45
	v_fma_f16 v58, v56, s11, v57
	v_fma_f16 v57, v50, s7, -v46
	v_add_f16_e32 v51, v57, v51
	v_mul_f16_e32 v57, 0xb853, v14
	v_fma_f16 v46, v50, s7, v46
	v_add_f16_e32 v46, v46, v48
	v_fma_f16 v48, v56, s7, -v57
	v_add_f16_e32 v43, v48, v43
	v_pk_add_f16 v48, v10, v12
	v_pk_add_f16 v10, v12, v10 neg_lo:[0,1] neg_hi:[0,1]
	v_mul_f16_sdwa v12, v10, s14 dst_sel:DWORD dst_unused:UNUSED_PAD src0_sel:WORD_1 src1_sel:DWORD
	v_add_f16_e32 v49, v58, v49
	v_fma_f16 v58, v56, s7, v57
	v_fma_f16 v56, v48, s16, -v12
	v_fma_f16 v12, v48, s16, v12
	s_mov_b32 s33, 0xb93db08e
	v_add_f16_e32 v12, v12, v18
	v_pk_mul_f16 v18, v48, s33
	s_mov_b32 s34, 0x3bebba0c
	v_add_f16_e32 v38, v56, v38
	v_pk_fma_f16 v56, v10, s34, v18 op_sel:[0,0,1] op_sel_hi:[1,1,0] neg_lo:[1,0,0] neg_hi:[1,0,0]
	v_pk_fma_f16 v18, v10, s34, v18 op_sel:[0,0,1] op_sel_hi:[1,1,0]
	v_bfi_b32 v57, s6, v18, v56
	v_add_f16_e32 v53, v58, v53
	v_pk_add_f16 v42, v57, v42
	v_lshrrev_b32_e32 v57, 16, v48
	v_mul_f16_e32 v58, 0x3beb, v10
	v_fma_f16 v59, v57, s15, v58
	v_fma_f16 v58, v57, s15, -v58
	v_add_f16_e32 v22, v58, v22
	v_mul_f16_sdwa v58, v10, s17 dst_sel:DWORD dst_unused:UNUSED_PAD src0_sel:WORD_1 src1_sel:DWORD
	v_add_f16_e32 v45, v59, v45
	v_fma_f16 v59, v48, s7, -v58
	v_add_f16_e32 v47, v59, v47
	v_mul_f16_e32 v59, 0xb853, v10
	v_fma_f16 v58, v48, s7, v58
	s_mov_b32 s25, 0xb482
	v_fma_f16 v60, v57, s7, v59
	v_add_f16_e32 v39, v58, v39
	v_fma_f16 v58, v57, s7, -v59
	v_mul_f16_sdwa v59, v10, s25 dst_sel:DWORD dst_unused:UNUSED_PAD src0_sel:WORD_1 src1_sel:DWORD
	v_add_f16_e32 v49, v60, v49
	v_fma_f16 v60, v48, s18, -v59
	v_add_f16_e32 v51, v60, v51
	v_mul_f16_e32 v60, 0xb482, v10
	v_fma_f16 v61, v57, s18, v60
	v_fma_f16 v57, v57, s18, -v60
	v_add_f16_e32 v43, v57, v43
	v_pk_add_f16 v57, v6, v8
	v_pk_add_f16 v6, v8, v6 neg_lo:[0,1] neg_hi:[0,1]
	v_fma_f16 v59, v48, s18, v59
	v_mul_f16_sdwa v8, v6, s25 dst_sel:DWORD dst_unused:UNUSED_PAD src0_sel:WORD_1 src1_sel:DWORD
	v_add_f16_e32 v46, v59, v46
	v_fma_f16 v59, v57, s18, -v8
	v_fma_f16 v8, v57, s18, v8
	s_mov_b32 s35, 0xbbad3abb
	v_add_f16_e32 v8, v8, v12
	v_pk_mul_f16 v12, v57, s35
	s_mov_b32 s31, 0x3853b482
	v_add_f16_sdwa v40, v36, v40 dst_sel:DWORD dst_unused:UNUSED_PAD src0_sel:WORD_1 src1_sel:DWORD
	v_pk_fma_f16 v60, v6, s31, v12 op_sel:[0,0,1] op_sel_hi:[1,1,0] neg_lo:[1,0,0] neg_hi:[1,0,0]
	v_add_f16_e32 v40, v54, v40
	v_pk_fma_f16 v54, v6, s31, v12 op_sel:[0,0,1] op_sel_hi:[1,1,0]
	v_bfi_b32 v54, s6, v54, v60
	v_add_f16_e32 v40, v55, v40
	v_pk_add_f16 v42, v54, v42
	v_lshrrev_b32_e32 v54, 16, v57
	v_mul_f16_e32 v55, 0x3853, v6
	v_add_f16_e32 v40, v56, v40
	v_fma_f16 v56, v54, s7, v55
	v_fma_f16 v55, v54, s7, -v55
	v_add_f16_e32 v22, v55, v22
	v_mul_f16_sdwa v55, v6, s14 dst_sel:DWORD dst_unused:UNUSED_PAD src0_sel:WORD_1 src1_sel:DWORD
	v_add_f16_e32 v45, v56, v45
	v_fma_f16 v56, v57, s16, -v55
	v_add_f16_e32 v47, v56, v47
	v_mul_f16_e32 v56, 0xb93d, v54
	v_fma_f16 v55, v57, s16, v55
	v_add_f16_e32 v53, v61, v53
	v_fma_f16 v61, v6, s14, v56
	v_add_f16_e32 v39, v55, v39
	v_mul_f16_sdwa v55, v6, s22 dst_sel:DWORD dst_unused:UNUSED_PAD src0_sel:WORD_1 src1_sel:DWORD
	v_add_f16_e32 v49, v61, v49
	v_fma_f16 v61, v57, s11, -v55
	v_add_f16_e32 v51, v61, v51
	v_mul_f16_e32 v61, 0x3b47, v6
	v_add_f16_e32 v38, v59, v38
	v_fma_f16 v62, v54, s11, v61
	v_mad_u32_u24 v34, v23, 44, v34
	v_add_f16_e32 v53, v62, v53
	v_alignbit_b32 v45, v45, v42, 16
	v_pack_b32_f16 v38, v38, v42
	s_waitcnt lgkmcnt(0)
	; wave barrier
	ds_write2_b32 v34, v38, v45 offset0:1 offset1:2
	v_pack_b32_f16 v38, v51, v53
	v_pack_b32_f16 v42, v47, v49
	v_pk_mul_f16 v37, v37, s18 op_sel_hi:[1,0]
	ds_write2_b32 v34, v42, v38 offset0:3 offset1:4
	v_pk_fma_f16 v38, v4, s25, v37 op_sel:[0,0,1] op_sel_hi:[1,0,0] neg_lo:[1,0,0] neg_hi:[1,0,0]
	v_alignbit_b32 v41, s0, v36, 16
	s_movk_i32 s29, 0x3853
	v_alignbit_b32 v42, s0, v38, 16
	v_pk_fma_f16 v4, v4, s25, v37 op_sel:[0,0,1] op_sel_hi:[1,0,0]
	v_pk_mul_f16 v37, v52, s7 op_sel_hi:[1,0]
	v_pk_add_f16 v42, v36, v42
	v_pk_add_f16 v4, v36, v4 op_sel:[1,0] op_sel_hi:[0,1]
	v_pk_add_f16 v36, v41, v38
	v_pk_fma_f16 v38, v16, s29, v37 op_sel:[0,0,1] op_sel_hi:[1,0,0] neg_lo:[1,0,0] neg_hi:[1,0,0]
	v_pk_fma_f16 v16, v16, s29, v37 op_sel:[0,0,1] op_sel_hi:[1,0,0]
	v_pk_add_f16 v4, v16, v4
	v_pk_add_f16 v16, v38, v36
	v_pk_mul_f16 v36, v50, s16 op_sel_hi:[1,0]
	v_pk_fma_f16 v37, v14, s14, v36 op_sel:[0,0,1] op_sel_hi:[1,0,0] neg_lo:[1,0,0] neg_hi:[1,0,0]
	v_pk_fma_f16 v14, v14, s14, v36 op_sel:[0,0,1] op_sel_hi:[1,0,0]
	v_pk_add_f16 v4, v14, v4
	v_pk_add_f16 v14, v37, v16
	v_pk_mul_f16 v16, v48, s11 op_sel_hi:[1,0]
	v_alignbit_b32 v41, s0, v38, 16
	v_pk_fma_f16 v36, v10, s22, v16 op_sel:[0,0,1] op_sel_hi:[1,0,0] neg_lo:[1,0,0] neg_hi:[1,0,0]
	v_pk_fma_f16 v10, v10, s22, v16 op_sel:[0,0,1] op_sel_hi:[1,0,0]
	v_pk_add_f16 v41, v41, v42
	v_alignbit_b32 v38, s0, v37, 16
	v_pk_add_f16 v4, v10, v4
	v_pk_add_f16 v10, v36, v14
	v_pk_mul_f16 v14, v57, s15 op_sel_hi:[1,0]
	v_pk_add_f16 v38, v38, v41
	v_alignbit_b32 v37, s0, v36, 16
	v_pk_fma_f16 v16, v6, s10, v14 op_sel:[0,0,1] op_sel_hi:[1,0,0] neg_lo:[1,0,0] neg_hi:[1,0,0]
	v_pk_mul_f16 v59, v6, s31
	v_add_f16_e32 v40, v60, v40
	v_mul_f16_e32 v60, 0xba0c, v6
	v_pk_add_f16 v37, v37, v38
	v_alignbit_b32 v36, s0, v16, 16
	v_pk_fma_f16 v6, v6, s10, v14 op_sel:[0,0,1] op_sel_hi:[1,0,0]
	v_fma_f16 v55, v57, s11, v55
	v_fma_f16 v54, v54, s11, -v61
	v_pk_add_f16 v36, v36, v37
	v_pk_add_f16 v4, v6, v4
	;; [unrolled: 1-line block ×3, first 2 shown]
	v_add_f16_e32 v46, v55, v46
	v_add_f16_e32 v43, v54, v43
	v_alignbit_b32 v6, v6, v4, 16
	v_pack_b32_f16 v4, v36, v4
	ds_write2_b32 v34, v4, v6 offset0:5 offset1:6
	v_pack_b32_f16 v4, v46, v43
	ds_write2_b32 v34, v35, v4 offset1:7
	v_pack_b32_f16 v4, v58, v12
	v_bfi_b32 v6, s6, v44, v59
	v_pk_add_f16 v4, v4, v6
	v_lshlrev_b32_e32 v6, 16, v20
	v_pk_add_f16 v10, v56, v60 neg_lo:[0,1] neg_hi:[0,1]
	v_pk_add_f16 v6, v18, v6
	v_bfi_b32 v6, s6, v10, v6
	v_pk_add_f16 v4, v6, v4
	v_alignbit_b32 v6, v22, v4, 16
	v_pack_b32_f16 v4, v39, v4
	ds_write2_b32 v34, v4, v6 offset0:8 offset1:9
	v_pack_b32_f16 v4, v8, v40
	v_cmp_gt_u32_e64 s[0:1], 4, v23
	ds_write_b32 v34, v4 offset:40
	s_and_saveexec_b64 s[4:5], s[0:1]
	s_cbranch_execz .LBB0_14
; %bb.13:
	v_pk_add_f16 v4, v3, v15
	v_pk_add_f16 v4, v4, v13
	v_pk_add_f16 v4, v4, v11
	v_pk_add_f16 v4, v4, v7
	v_pk_add_f16 v4, v4, v5
	v_pk_add_f16 v4, v4, v9
	v_pk_add_f16 v6, v15, v33 neg_lo:[0,1] neg_hi:[0,1]
	v_pk_add_f16 v8, v33, v15
	v_pk_add_f16 v4, v4, v17
	v_pk_add_f16 v10, v13, v21 neg_lo:[0,1] neg_hi:[0,1]
	v_pk_add_f16 v12, v21, v13
	v_pk_add_f16 v15, v5, v9 neg_lo:[0,1] neg_hi:[0,1]
	v_pk_add_f16 v5, v9, v5
	v_mul_f16_e32 v9, 0xba0c, v6
	v_lshrrev_b32_e32 v16, 16, v8
	v_pk_add_f16 v4, v4, v19
	v_pk_add_f16 v13, v11, v19 neg_lo:[0,1] neg_hi:[0,1]
	v_pk_add_f16 v11, v19, v11
	v_pk_add_f16 v14, v7, v17 neg_lo:[0,1] neg_hi:[0,1]
	v_pk_add_f16 v7, v17, v7
	v_fma_f16 v17, v16, s16, v9
	v_mul_f16_e32 v18, 0x3beb, v10
	v_lshrrev_b32_e32 v19, 16, v12
	v_add_f16_sdwa v17, v3, v17 dst_sel:DWORD dst_unused:UNUSED_PAD src0_sel:WORD_1 src1_sel:DWORD
	v_fma_f16 v20, v19, s15, v18
	v_pk_add_f16 v4, v4, v21
	v_add_f16_e32 v17, v20, v17
	v_mul_f16_e32 v20, 0xb853, v13
	v_lshrrev_b32_e32 v21, 16, v11
	v_fma_f16 v22, v21, s7, v20
	v_pk_add_f16 v4, v4, v33
	v_add_f16_e32 v17, v22, v17
	v_mul_f16_e32 v22, 0xb482, v14
	v_lshrrev_b32_e32 v33, 16, v7
	v_fma_f16 v34, v33, s18, v22
	v_add_f16_e32 v17, v34, v17
	v_mul_f16_e32 v34, 0x3b47, v15
	v_lshrrev_b32_e32 v35, 16, v5
	v_fma_f16 v36, v35, s11, v34
	v_add_f16_e32 v17, v36, v17
	v_mul_f16_sdwa v36, v6, s14 dst_sel:DWORD dst_unused:UNUSED_PAD src0_sel:WORD_1 src1_sel:DWORD
	v_fma_f16 v37, v8, s16, -v36
	v_mul_f16_sdwa v38, v10, s30 dst_sel:DWORD dst_unused:UNUSED_PAD src0_sel:WORD_1 src1_sel:DWORD
	v_add_f16_e32 v37, v3, v37
	v_fma_f16 v39, v12, s15, -v38
	v_add_f16_e32 v37, v39, v37
	v_mul_f16_sdwa v39, v13, s17 dst_sel:DWORD dst_unused:UNUSED_PAD src0_sel:WORD_1 src1_sel:DWORD
	v_fma_f16 v40, v11, s7, -v39
	v_add_f16_e32 v37, v40, v37
	v_mul_f16_sdwa v40, v14, s25 dst_sel:DWORD dst_unused:UNUSED_PAD src0_sel:WORD_1 src1_sel:DWORD
	;; [unrolled: 3-line block ×3, first 2 shown]
	v_fma_f16 v42, v5, s11, -v41
	v_add_f16_e32 v37, v42, v37
	v_mul_f16_e32 v42, 0xbbeb, v6
	v_fma_f16 v43, v16, s15, v42
	v_mul_f16_e32 v44, 0x3482, v10
	v_add_f16_sdwa v43, v3, v43 dst_sel:DWORD dst_unused:UNUSED_PAD src0_sel:WORD_1 src1_sel:DWORD
	v_fma_f16 v45, v19, s18, v44
	v_add_f16_e32 v43, v45, v43
	v_mul_f16_e32 v45, 0x3b47, v13
	v_fma_f16 v46, v21, s11, v45
	v_add_f16_e32 v43, v46, v43
	v_mul_f16_e32 v46, 0xb853, v14
	;; [unrolled: 3-line block ×3, first 2 shown]
	v_fma_f16 v48, v15, s14, v47
	v_add_f16_e32 v43, v48, v43
	v_mul_f16_sdwa v48, v6, s10 dst_sel:DWORD dst_unused:UNUSED_PAD src0_sel:WORD_1 src1_sel:DWORD
	v_fma_f16 v49, v8, s15, -v48
	v_mul_f16_sdwa v50, v10, s26 dst_sel:DWORD dst_unused:UNUSED_PAD src0_sel:WORD_1 src1_sel:DWORD
	v_add_f16_e32 v49, v3, v49
	v_fma_f16 v51, v12, s18, -v50
	v_add_f16_e32 v49, v51, v49
	v_mul_f16_sdwa v51, v13, s22 dst_sel:DWORD dst_unused:UNUSED_PAD src0_sel:WORD_1 src1_sel:DWORD
	v_fma_f16 v52, v11, s11, -v51
	v_add_f16_e32 v49, v52, v49
	v_mul_f16_sdwa v52, v14, s17 dst_sel:DWORD dst_unused:UNUSED_PAD src0_sel:WORD_1 src1_sel:DWORD
	;; [unrolled: 3-line block ×3, first 2 shown]
	v_fma_f16 v54, v5, s16, -v53
	v_add_f16_e32 v49, v54, v49
	v_mul_f16_e32 v54, 0xbb47, v6
	v_fma_f16 v55, v16, s11, v54
	v_mul_f16_e32 v56, 0xba0c, v10
	v_add_f16_sdwa v55, v3, v55 dst_sel:DWORD dst_unused:UNUSED_PAD src0_sel:WORD_1 src1_sel:DWORD
	v_fma_f16 v57, v19, s16, v56
	v_add_f16_e32 v55, v57, v55
	v_mul_f16_e32 v57, 0x3482, v13
	v_fma_f16 v58, v21, s18, v57
	v_add_f16_e32 v55, v58, v55
	v_mul_f16_e32 v58, 0x3beb, v14
	;; [unrolled: 3-line block ×3, first 2 shown]
	v_fma_f16 v60, v35, s7, v59
	v_add_f16_e32 v55, v60, v55
	v_pk_mul_f16 v60, v8, s20
	v_pk_fma_f16 v61, v6, s21, v60 op_sel:[0,0,1] op_sel_hi:[1,1,0]
	v_pk_fma_f16 v60, v6, s21, v60 op_sel:[0,0,1] op_sel_hi:[1,1,0] neg_lo:[1,0,0] neg_hi:[1,0,0]
	v_pk_mul_f16 v63, v12, s23
	v_bfi_b32 v62, s6, v61, v60
	v_pk_fma_f16 v64, v10, s24, v63 op_sel:[0,0,1] op_sel_hi:[1,1,0]
	v_pk_fma_f16 v63, v10, s24, v63 op_sel:[0,0,1] op_sel_hi:[1,1,0] neg_lo:[1,0,0] neg_hi:[1,0,0]
	v_pk_add_f16 v62, v3, v62 op_sel:[1,0] op_sel_hi:[0,1]
	v_bfi_b32 v65, s6, v64, v63
	v_fma_f16 v9, v16, s16, -v9
	v_pk_add_f16 v62, v65, v62
	v_pk_mul_f16 v65, v11, s27
	v_add_f16_sdwa v9, v3, v9 dst_sel:DWORD dst_unused:UNUSED_PAD src0_sel:WORD_1 src1_sel:DWORD
	v_fma_f16 v18, v19, s15, -v18
	v_pk_fma_f16 v66, v13, s28, v65 op_sel:[0,0,1] op_sel_hi:[1,1,0]
	v_pk_fma_f16 v65, v13, s28, v65 op_sel:[0,0,1] op_sel_hi:[1,1,0] neg_lo:[1,0,0] neg_hi:[1,0,0]
	v_add_f16_e32 v9, v18, v9
	v_fma_f16 v18, v21, s7, -v20
	v_bfi_b32 v67, s6, v66, v65
	v_add_f16_e32 v9, v18, v9
	v_fma_f16 v18, v33, s18, -v22
	v_pk_add_f16 v62, v67, v62
	v_pk_mul_f16 v67, v7, s33
	v_add_f16_e32 v9, v18, v9
	v_fma_f16 v18, v35, s11, -v34
	v_pk_fma_f16 v68, v14, s34, v67 op_sel:[0,0,1] op_sel_hi:[1,1,0]
	v_pk_fma_f16 v67, v14, s34, v67 op_sel:[0,0,1] op_sel_hi:[1,1,0] neg_lo:[1,0,0] neg_hi:[1,0,0]
	v_add_f16_e32 v9, v18, v9
	v_fma_f16 v18, v8, s16, v36
	v_bfi_b32 v69, s6, v68, v67
	v_add_f16_e32 v18, v3, v18
	v_fma_f16 v20, v12, s15, v38
	v_pk_add_f16 v62, v69, v62
	v_pk_mul_f16 v69, v5, s35
	v_add_f16_e32 v18, v20, v18
	v_fma_f16 v20, v11, s7, v39
	v_pk_fma_f16 v70, v15, s31, v69 op_sel:[0,0,1] op_sel_hi:[1,1,0]
	v_pk_fma_f16 v71, v15, s31, v69 op_sel:[0,0,1] op_sel_hi:[1,1,0] neg_lo:[1,0,0] neg_hi:[1,0,0]
	v_add_f16_e32 v18, v20, v18
	v_fma_f16 v20, v7, s18, v40
	v_bfi_b32 v70, s6, v70, v71
	v_add_f16_e32 v18, v20, v18
	v_fma_f16 v20, v5, s11, v41
	v_pk_add_f16 v62, v70, v62
	v_mul_f16_sdwa v70, v6, s17 dst_sel:DWORD dst_unused:UNUSED_PAD src0_sel:WORD_1 src1_sel:DWORD
	v_add_f16_e32 v18, v20, v18
	v_fma_f16 v20, v16, s15, -v42
	v_fma_f16 v72, v8, s7, -v70
	v_mul_f16_sdwa v73, v10, s19 dst_sel:DWORD dst_unused:UNUSED_PAD src0_sel:WORD_1 src1_sel:DWORD
	v_add_f16_sdwa v20, v3, v20 dst_sel:DWORD dst_unused:UNUSED_PAD src0_sel:WORD_1 src1_sel:DWORD
	v_fma_f16 v22, v19, s18, -v44
	v_add_f16_e32 v72, v3, v72
	v_fma_f16 v74, v12, s11, -v73
	v_add_f16_e32 v20, v22, v20
	;; [unrolled: 2-line block ×3, first 2 shown]
	v_mul_f16_sdwa v74, v13, s10 dst_sel:DWORD dst_unused:UNUSED_PAD src0_sel:WORD_1 src1_sel:DWORD
	v_add_f16_e32 v20, v22, v20
	v_fma_f16 v22, v8, s15, v48
	v_fma_f16 v75, v11, s15, -v74
	v_add_f16_e32 v22, v3, v22
	v_fma_f16 v34, v12, s18, v50
	v_add_f16_e32 v72, v75, v72
	v_mul_f16_sdwa v75, v14, s14 dst_sel:DWORD dst_unused:UNUSED_PAD src0_sel:WORD_1 src1_sel:DWORD
	v_add_f16_e32 v22, v34, v22
	v_fma_f16 v34, v11, s11, v51
	v_fma_f16 v39, v8, s7, v70
	v_fma_f16 v76, v7, s16, -v75
	v_add_f16_e32 v22, v34, v22
	v_fma_f16 v34, v7, s7, v52
	v_fma_f16 v16, v16, s11, -v54
	v_add_f16_e32 v39, v3, v39
	v_fma_f16 v40, v12, s11, v73
	v_add_f16_e32 v72, v76, v72
	v_mul_f16_sdwa v76, v15, s25 dst_sel:DWORD dst_unused:UNUSED_PAD src0_sel:WORD_1 src1_sel:DWORD
	v_add_f16_e32 v22, v34, v22
	v_fma_f16 v34, v5, s16, v53
	v_fma_f16 v19, v19, s16, -v56
	v_add_f16_sdwa v16, v3, v16 dst_sel:DWORD dst_unused:UNUSED_PAD src0_sel:WORD_1 src1_sel:DWORD
	v_add_f16_e32 v39, v40, v39
	v_fma_f16 v40, v11, s15, v74
	v_fma_f16 v77, v5, s18, -v76
	v_add_f16_e32 v22, v34, v22
	v_mul_i32_i24_e32 v34, 44, v32
	v_add_f16_e32 v16, v19, v16
	v_fma_f16 v21, v21, s18, -v57
	v_add_f16_e32 v39, v40, v39
	v_fma_f16 v40, v7, s16, v75
	v_add_f16_e32 v72, v77, v72
	v_add3_u32 v34, 0, v34, v30
	v_add_f16_e32 v16, v21, v16
	v_fma_f16 v21, v33, s15, -v58
	v_add_f16_e32 v39, v40, v39
	v_fma_f16 v40, v5, s18, v76
	v_pack_b32_f16 v17, v37, v17
	v_pack_b32_f16 v37, v49, v43
	v_pk_mul_f16 v8, v8, s18 op_sel_hi:[1,0]
	v_add_f16_e32 v16, v21, v16
	v_fma_f16 v21, v35, s7, -v59
	v_add_f16_e32 v39, v40, v39
	v_alignbit_b32 v40, v55, v62, 16
	v_pack_b32_f16 v41, v72, v62
	ds_write2_b32 v34, v37, v17 offset0:3 offset1:4
	v_pk_fma_f16 v17, v6, s25, v8 op_sel:[0,0,1] op_sel_hi:[1,0,0] neg_lo:[1,0,0] neg_hi:[1,0,0]
	v_pk_mul_f16 v12, v12, s7 op_sel_hi:[1,0]
	v_add_f16_e32 v16, v21, v16
	v_alignbit_b32 v21, s0, v61, 16
	ds_write2_b32 v34, v41, v40 offset0:1 offset1:2
	v_alignbit_b32 v37, s0, v17, 16
	v_pk_fma_f16 v40, v10, s29, v12 op_sel:[0,0,1] op_sel_hi:[1,0,0] neg_lo:[1,0,0] neg_hi:[1,0,0]
	v_fma_f16 v38, v33, s7, -v46
	v_pk_add_f16 v21, v3, v21
	v_alignbit_b32 v33, s0, v64, 16
	v_pk_add_f16 v37, v3, v37
	v_alignbit_b32 v41, s0, v40, 16
	v_pk_mul_f16 v11, v11, s16 op_sel_hi:[1,0]
	v_pk_add_f16 v21, v33, v21
	v_alignbit_b32 v33, s0, v66, 16
	v_pk_add_f16 v37, v41, v37
	v_pk_fma_f16 v41, v13, s14, v11 op_sel:[0,0,1] op_sel_hi:[1,0,0] neg_lo:[1,0,0] neg_hi:[1,0,0]
	v_pk_add_f16 v21, v33, v21
	v_alignbit_b32 v33, s0, v3, 16
	v_alignbit_b32 v42, s0, v41, 16
	v_pk_mul_f16 v7, v7, s11 op_sel_hi:[1,0]
	v_pk_fma_f16 v6, v6, s25, v8 op_sel:[0,0,1] op_sel_hi:[1,0,0]
	v_add_f16_sdwa v35, v3, v60 dst_sel:DWORD dst_unused:UNUSED_PAD src0_sel:WORD_1 src1_sel:DWORD
	v_pk_add_f16 v37, v42, v37
	v_pk_fma_f16 v42, v14, s22, v7 op_sel:[0,0,1] op_sel_hi:[1,0,0] neg_lo:[1,0,0] neg_hi:[1,0,0]
	v_pk_add_f16 v17, v33, v17
	v_pk_add_f16 v3, v3, v6 op_sel:[1,0] op_sel_hi:[0,1]
	v_pk_fma_f16 v6, v10, s29, v12 op_sel:[0,0,1] op_sel_hi:[1,0,0]
	v_alignbit_b32 v43, s0, v42, 16
	v_pk_mul_f16 v5, v5, s15 op_sel_hi:[1,0]
	v_pk_add_f16 v17, v40, v17
	v_pk_add_f16 v3, v6, v3
	v_pk_fma_f16 v6, v13, s14, v11 op_sel:[0,0,1] op_sel_hi:[1,0,0]
	v_pk_add_f16 v37, v43, v37
	v_pk_fma_f16 v43, v15, s10, v5 op_sel:[0,0,1] op_sel_hi:[1,0,0] neg_lo:[1,0,0] neg_hi:[1,0,0]
	v_pk_add_f16 v17, v41, v17
	v_pk_add_f16 v3, v6, v3
	v_pk_fma_f16 v6, v14, s22, v7 op_sel:[0,0,1] op_sel_hi:[1,0,0]
	v_alignbit_b32 v44, s0, v43, 16
	v_pk_add_f16 v17, v42, v17
	v_pk_add_f16 v3, v6, v3
	v_pk_fma_f16 v5, v15, s10, v5 op_sel:[0,0,1] op_sel_hi:[1,0,0]
	v_pk_add_f16 v37, v44, v37
	v_pk_add_f16 v17, v43, v17
	;; [unrolled: 1-line block ×3, first 2 shown]
	v_alignbit_b32 v5, v17, v3, 16
	v_pack_b32_f16 v3, v37, v3
	ds_write2_b32 v34, v3, v5 offset0:5 offset1:6
	v_pack_b32_f16 v3, v18, v9
	v_mul_f16_e32 v36, 0xba0c, v15
	ds_write2_b32 v34, v4, v3 offset1:7
	v_lshlrev_b32_e32 v3, 16, v21
	v_pk_mul_f16 v19, v15, s31
	v_pk_add_f16 v4, v47, v36 neg_lo:[0,1] neg_hi:[0,1]
	v_pk_add_f16 v3, v68, v3
	v_add_f16_e32 v35, v63, v35
	v_bfi_b32 v3, s6, v4, v3
	v_pack_b32_f16 v4, v38, v69
	v_bfi_b32 v5, s6, v20, v19
	v_add_f16_e32 v35, v65, v35
	v_pk_add_f16 v4, v4, v5
	v_add_f16_e32 v35, v67, v35
	v_pk_add_f16 v3, v3, v4
	v_add_f16_e32 v35, v71, v35
	v_alignbit_b32 v4, v16, v3, 16
	v_pack_b32_f16 v3, v22, v3
	ds_write2_b32 v34, v3, v4 offset0:8 offset1:9
	v_pack_b32_f16 v3, v39, v35
	ds_write_b32 v34, v3 offset:40
.LBB0_14:
	s_or_b64 exec, exec, s[4:5]
	v_mov_b32_e32 v3, 0
	v_lshlrev_b64 v[4:5], 2, v[2:3]
	v_mov_b32_e32 v35, s9
	v_add_co_u32_e64 v4, s[0:1], s8, v4
	v_addc_co_u32_e64 v5, s[0:1], v35, v5, s[0:1]
	s_movk_i32 s0, 0x75
	s_waitcnt lgkmcnt(0)
	; wave barrier
	s_waitcnt lgkmcnt(0)
	global_load_dwordx4 v[5:8], v[4:5], off
	v_mul_lo_u16_sdwa v4, v28, s0 dst_sel:DWORD dst_unused:UNUSED_PAD src0_sel:BYTE_0 src1_sel:DWORD
	v_sub_u16_sdwa v9, v28, v4 dst_sel:DWORD dst_unused:UNUSED_PAD src0_sel:DWORD src1_sel:BYTE_1
	v_lshrrev_b16_e32 v9, 1, v9
	v_and_b32_e32 v9, 0x7f, v9
	v_add_u16_sdwa v4, v9, v4 dst_sel:DWORD dst_unused:UNUSED_PAD src0_sel:DWORD src1_sel:BYTE_1
	v_lshrrev_b16_e32 v4, 3, v4
	v_mul_lo_u16_e32 v4, 11, v4
	v_mov_b32_e32 v2, 4
	v_sub_u16_e32 v36, v28, v4
	v_lshlrev_b32_sdwa v2, v2, v36 dst_sel:DWORD dst_unused:UNUSED_PAD src0_sel:DWORD src1_sel:BYTE_0
	global_load_dwordx4 v[9:12], v2, s[8:9]
	ds_read_b32 v2, v29
	ds_read2_b32 v[13:14], v31 offset0:22 offset1:33
	ds_read2_b32 v[15:16], v31 offset0:66 offset1:77
	;; [unrolled: 1-line block ×6, first 2 shown]
	v_lshlrev_b32_e32 v4, 2, v32
	v_add3_u32 v4, 0, v4, v30
	v_mov_b32_e32 v37, 2
	ds_read_b32 v38, v4
	ds_read_b32 v39, v31 offset:616
	s_waitcnt lgkmcnt(3)
	v_lshrrev_b32_e32 v42, 16, v21
	v_lshrrev_b32_e32 v43, 16, v16
	;; [unrolled: 1-line block ×5, first 2 shown]
	s_waitcnt lgkmcnt(2)
	v_lshrrev_b32_e32 v44, 16, v33
	v_lshrrev_b32_e32 v47, 16, v22
	v_lshlrev_b32_sdwa v36, v37, v36 dst_sel:DWORD dst_unused:UNUSED_PAD src0_sel:DWORD src1_sel:BYTE_0
	v_lshrrev_b32_e32 v41, 16, v19
	v_lshrrev_b32_e32 v45, 16, v20
	;; [unrolled: 1-line block ×4, first 2 shown]
	s_movk_i32 s0, 0x3b9c
	s_mov_b32 s5, 0xbb9c
	s_waitcnt lgkmcnt(0)
	v_lshrrev_b32_e32 v54, 16, v39
	s_movk_i32 s1, 0x38b4
	s_mov_b32 s6, 0xb8b4
	s_movk_i32 s4, 0x34f2
	v_lshrrev_b32_e32 v40, 16, v2
	v_lshrrev_b32_e32 v53, 16, v38
	;; [unrolled: 1-line block ×3, first 2 shown]
	s_waitcnt lgkmcnt(0)
	; wave barrier
	s_waitcnt vmcnt(1)
	v_mul_f16_sdwa v37, v5, v50 dst_sel:DWORD dst_unused:UNUSED_PAD src0_sel:WORD_1 src1_sel:DWORD
	v_mul_f16_sdwa v55, v5, v14 dst_sel:DWORD dst_unused:UNUSED_PAD src0_sel:WORD_1 src1_sel:DWORD
	;; [unrolled: 1-line block ×5, first 2 shown]
	v_mul_f16_sdwa v62, v42, v5 dst_sel:DWORD dst_unused:UNUSED_PAD src0_sel:DWORD src1_sel:WORD_1
	v_mul_f16_sdwa v63, v21, v5 dst_sel:DWORD dst_unused:UNUSED_PAD src0_sel:DWORD src1_sel:WORD_1
	v_mul_f16_sdwa v64, v43, v6 dst_sel:DWORD dst_unused:UNUSED_PAD src0_sel:DWORD src1_sel:WORD_1
	v_mul_f16_sdwa v65, v16, v6 dst_sel:DWORD dst_unused:UNUSED_PAD src0_sel:DWORD src1_sel:WORD_1
	v_mul_f16_sdwa v59, v7, v18 dst_sel:DWORD dst_unused:UNUSED_PAD src0_sel:WORD_1 src1_sel:DWORD
	v_mul_f16_sdwa v61, v19, v8 dst_sel:DWORD dst_unused:UNUSED_PAD src0_sel:DWORD src1_sel:WORD_1
	v_mul_f16_sdwa v66, v44, v7 dst_sel:DWORD dst_unused:UNUSED_PAD src0_sel:DWORD src1_sel:WORD_1
	v_mul_f16_sdwa v67, v33, v7 dst_sel:DWORD dst_unused:UNUSED_PAD src0_sel:DWORD src1_sel:WORD_1
	v_fma_f16 v14, v5, v14, -v37
	v_fma_f16 v37, v5, v50, v55
	v_fma_f16 v15, v6, v15, -v56
	v_fma_f16 v50, v6, v51, v57
	v_fma_f16 v18, v7, v18, -v58
	v_fma_f16 v21, v21, v5, -v62
	v_fma_f16 v5, v42, v5, v63
	v_fma_f16 v16, v16, v6, -v64
	v_fma_f16 v6, v43, v6, v65
	s_waitcnt vmcnt(0)
	v_mul_f16_sdwa v42, v47, v9 dst_sel:DWORD dst_unused:UNUSED_PAD src0_sel:DWORD src1_sel:WORD_1
	v_mul_f16_sdwa v43, v22, v9 dst_sel:DWORD dst_unused:UNUSED_PAD src0_sel:DWORD src1_sel:WORD_1
	;; [unrolled: 1-line block ×5, first 2 shown]
	v_fma_f16 v51, v7, v52, v59
	v_fma_f16 v41, v41, v8, v61
	v_fma_f16 v33, v33, v7, -v66
	v_fma_f16 v7, v44, v7, v67
	v_mul_f16_sdwa v44, v48, v10 dst_sel:DWORD dst_unused:UNUSED_PAD src0_sel:DWORD src1_sel:WORD_1
	v_mul_f16_sdwa v52, v49, v11 dst_sel:DWORD dst_unused:UNUSED_PAD src0_sel:DWORD src1_sel:WORD_1
	v_fma_f16 v22, v22, v9, -v42
	v_fma_f16 v9, v47, v9, v43
	v_add_f16_e32 v43, v15, v18
	v_fma_f16 v19, v19, v8, -v60
	v_fma_f16 v20, v20, v8, -v68
	v_fma_f16 v8, v45, v8, v69
	v_mul_f16_sdwa v45, v17, v10 dst_sel:DWORD dst_unused:UNUSED_PAD src0_sel:DWORD src1_sel:WORD_1
	v_fma_f16 v17, v17, v10, -v44
	v_fma_f16 v42, v34, v11, -v52
	v_mul_f16_sdwa v34, v34, v11 dst_sel:DWORD dst_unused:UNUSED_PAD src0_sel:DWORD src1_sel:WORD_1
	v_fma_f16 v43, v43, -0.5, v2
	v_sub_f16_e32 v44, v37, v41
	v_fma_f16 v10, v48, v10, v45
	v_fma_f16 v11, v49, v11, v34
	;; [unrolled: 1-line block ×3, first 2 shown]
	v_sub_f16_e32 v47, v50, v51
	v_sub_f16_e32 v48, v14, v15
	;; [unrolled: 1-line block ×3, first 2 shown]
	v_fma_f16 v43, v44, s5, v43
	v_mul_f16_sdwa v34, v54, v12 dst_sel:DWORD dst_unused:UNUSED_PAD src0_sel:DWORD src1_sel:WORD_1
	v_fma_f16 v45, v47, s1, v45
	v_add_f16_e32 v48, v48, v49
	v_fma_f16 v43, v47, s6, v43
	v_fma_f16 v34, v39, v12, -v34
	v_mul_f16_sdwa v39, v39, v12 dst_sel:DWORD dst_unused:UNUSED_PAD src0_sel:DWORD src1_sel:WORD_1
	v_fma_f16 v45, v48, s4, v45
	v_fma_f16 v43, v48, s4, v43
	v_add_f16_e32 v48, v14, v19
	v_fma_f16 v12, v54, v12, v39
	v_add_f16_e32 v39, v2, v14
	v_fma_f16 v2, v48, -0.5, v2
	v_add_f16_e32 v39, v39, v15
	v_fma_f16 v48, v47, s5, v2
	v_fma_f16 v2, v47, s0, v2
	v_add_f16_e32 v47, v50, v51
	v_add_f16_e32 v39, v39, v18
	v_sub_f16_e32 v49, v15, v14
	v_sub_f16_e32 v52, v18, v19
	v_fma_f16 v47, v47, -0.5, v40
	v_sub_f16_e32 v14, v14, v19
	v_add_f16_e32 v39, v39, v19
	v_fma_f16 v48, v44, s1, v48
	v_add_f16_e32 v49, v49, v52
	v_fma_f16 v2, v44, s6, v2
	v_fma_f16 v19, v14, s5, v47
	v_sub_f16_e32 v15, v15, v18
	v_fma_f16 v48, v49, s4, v48
	v_fma_f16 v2, v49, s4, v2
	;; [unrolled: 1-line block ×3, first 2 shown]
	v_sub_f16_e32 v19, v37, v50
	v_sub_f16_e32 v49, v41, v51
	v_fma_f16 v47, v14, s0, v47
	v_add_f16_e32 v44, v40, v37
	v_add_f16_e32 v19, v19, v49
	v_fma_f16 v47, v15, s1, v47
	v_add_f16_e32 v44, v44, v50
	v_fma_f16 v18, v19, s4, v18
	v_fma_f16 v19, v19, s4, v47
	v_add_f16_e32 v47, v37, v41
	v_add_f16_e32 v44, v44, v51
	v_fma_f16 v40, v47, -0.5, v40
	v_add_f16_e32 v44, v44, v41
	v_fma_f16 v47, v15, s0, v40
	v_sub_f16_e32 v37, v50, v37
	v_sub_f16_e32 v41, v51, v41
	v_fma_f16 v15, v15, s5, v40
	v_fma_f16 v47, v14, s6, v47
	v_add_f16_e32 v37, v37, v41
	v_fma_f16 v14, v14, s1, v15
	v_fma_f16 v41, v37, s4, v47
	;; [unrolled: 1-line block ×3, first 2 shown]
	v_add_f16_e32 v37, v16, v33
	v_fma_f16 v37, v37, -0.5, v38
	v_sub_f16_e32 v40, v5, v8
	v_fma_f16 v47, v40, s0, v37
	v_sub_f16_e32 v49, v6, v7
	v_sub_f16_e32 v50, v21, v16
	;; [unrolled: 1-line block ×3, first 2 shown]
	v_fma_f16 v37, v40, s5, v37
	v_fma_f16 v47, v49, s1, v47
	v_add_f16_e32 v50, v50, v51
	v_fma_f16 v37, v49, s6, v37
	v_add_f16_e32 v15, v38, v21
	v_fma_f16 v47, v50, s4, v47
	v_fma_f16 v37, v50, s4, v37
	v_add_f16_e32 v50, v21, v20
	v_add_f16_e32 v15, v15, v16
	v_fma_f16 v38, v50, -0.5, v38
	v_add_f16_e32 v15, v15, v33
	v_fma_f16 v50, v49, s5, v38
	v_sub_f16_e32 v51, v16, v21
	v_sub_f16_e32 v52, v33, v20
	v_fma_f16 v38, v49, s0, v38
	v_add_f16_e32 v49, v6, v7
	v_add_f16_e32 v15, v15, v20
	v_fma_f16 v50, v40, s1, v50
	v_add_f16_e32 v51, v51, v52
	v_fma_f16 v38, v40, s6, v38
	v_fma_f16 v49, v49, -0.5, v53
	v_sub_f16_e32 v20, v21, v20
	v_fma_f16 v50, v51, s4, v50
	v_fma_f16 v38, v51, s4, v38
	;; [unrolled: 1-line block ×3, first 2 shown]
	v_sub_f16_e32 v16, v16, v33
	v_sub_f16_e32 v33, v5, v6
	;; [unrolled: 1-line block ×3, first 2 shown]
	v_fma_f16 v49, v20, s0, v49
	v_add_f16_e32 v40, v53, v5
	v_fma_f16 v21, v16, s6, v21
	v_add_f16_e32 v33, v33, v51
	;; [unrolled: 2-line block ×3, first 2 shown]
	v_fma_f16 v21, v33, s4, v21
	v_fma_f16 v33, v33, s4, v49
	v_add_f16_e32 v49, v5, v8
	v_add_f16_e32 v40, v40, v7
	v_fma_f16 v49, v49, -0.5, v53
	v_add_f16_e32 v40, v40, v8
	v_fma_f16 v51, v16, s0, v49
	v_sub_f16_e32 v5, v6, v5
	v_sub_f16_e32 v6, v7, v8
	v_add_f16_e32 v8, v17, v42
	v_fma_f16 v51, v20, s6, v51
	v_add_f16_e32 v5, v5, v6
	v_fma_f16 v7, v16, s5, v49
	v_fma_f16 v8, v8, -0.5, v13
	v_sub_f16_e32 v16, v9, v12
	v_fma_f16 v6, v5, s4, v51
	v_fma_f16 v7, v20, s1, v7
	;; [unrolled: 1-line block ×3, first 2 shown]
	v_sub_f16_e32 v49, v10, v11
	v_sub_f16_e32 v51, v22, v17
	;; [unrolled: 1-line block ×3, first 2 shown]
	v_fma_f16 v8, v16, s5, v8
	v_fma_f16 v20, v49, s1, v20
	v_add_f16_e32 v51, v51, v52
	v_fma_f16 v8, v49, s6, v8
	v_fma_f16 v20, v51, s4, v20
	;; [unrolled: 1-line block ×3, first 2 shown]
	v_add_f16_e32 v51, v22, v34
	v_fma_f16 v5, v5, s4, v7
	v_add_f16_e32 v7, v13, v22
	v_fma_f16 v13, v51, -0.5, v13
	v_add_f16_e32 v7, v7, v17
	v_fma_f16 v51, v49, s5, v13
	v_sub_f16_e32 v52, v17, v22
	v_sub_f16_e32 v53, v42, v34
	v_fma_f16 v13, v49, s0, v13
	v_add_f16_e32 v49, v10, v11
	v_add_f16_e32 v7, v7, v42
	v_fma_f16 v51, v16, s1, v51
	v_add_f16_e32 v52, v52, v53
	v_fma_f16 v13, v16, s6, v13
	v_fma_f16 v49, v49, -0.5, v46
	v_sub_f16_e32 v22, v22, v34
	v_add_f16_e32 v7, v7, v34
	v_fma_f16 v51, v52, s4, v51
	v_fma_f16 v13, v52, s4, v13
	;; [unrolled: 1-line block ×3, first 2 shown]
	v_sub_f16_e32 v17, v17, v42
	v_sub_f16_e32 v42, v9, v10
	;; [unrolled: 1-line block ×3, first 2 shown]
	v_fma_f16 v49, v22, s0, v49
	v_fma_f16 v34, v17, s6, v34
	v_add_f16_e32 v42, v42, v52
	v_fma_f16 v49, v17, s1, v49
	v_add_f16_e32 v16, v46, v9
	v_fma_f16 v34, v42, s4, v34
	v_fma_f16 v42, v42, s4, v49
	v_add_f16_e32 v49, v9, v12
	v_add_f16_e32 v16, v16, v10
	v_fma_f16 v46, v49, -0.5, v46
	v_add_f16_e32 v16, v16, v11
	v_fma_f16 v49, v17, s0, v46
	v_sub_f16_e32 v9, v10, v9
	v_sub_f16_e32 v10, v11, v12
	v_fma_f16 v11, v17, s5, v46
	v_fma_f16 v49, v22, s6, v49
	v_add_f16_e32 v9, v9, v10
	v_fma_f16 v11, v22, s1, v11
	v_add_f16_e32 v16, v16, v12
	v_fma_f16 v10, v9, s4, v49
	v_fma_f16 v9, v9, s4, v11
	v_pack_b32_f16 v11, v39, v44
	v_pack_b32_f16 v12, v45, v18
	ds_write2_b32 v31, v11, v12 offset1:11
	v_pack_b32_f16 v11, v48, v41
	v_pack_b32_f16 v2, v2, v14
	ds_write2_b32 v31, v11, v2 offset0:22 offset1:33
	v_pack_b32_f16 v2, v43, v19
	v_pack_b32_f16 v11, v15, v40
	ds_write2_b32 v31, v2, v11 offset0:44 offset1:55
	v_pack_b32_f16 v2, v47, v21
	v_pack_b32_f16 v6, v50, v6
	ds_write2_b32 v31, v2, v6 offset0:66 offset1:77
	v_pack_b32_f16 v2, v38, v5
	v_pack_b32_f16 v5, v37, v33
	ds_write2_b32 v31, v2, v5 offset0:88 offset1:99
	v_add3_u32 v2, 0, v36, v30
	v_pack_b32_f16 v5, v7, v16
	v_pack_b32_f16 v6, v20, v34
	ds_write2_b32 v2, v5, v6 offset0:110 offset1:121
	v_pack_b32_f16 v5, v51, v10
	v_pack_b32_f16 v6, v13, v9
	ds_write2_b32 v2, v5, v6 offset0:132 offset1:143
	v_pack_b32_f16 v5, v8, v42
	ds_write_b32 v2, v5 offset:616
	v_lshlrev_b32_e32 v2, 1, v23
	v_lshlrev_b64 v[5:6], 2, v[2:3]
	s_waitcnt lgkmcnt(0)
	v_add_co_u32_e64 v5, s[0:1], s8, v5
	v_addc_co_u32_e64 v6, s[0:1], v35, v6, s[0:1]
	; wave barrier
	global_load_dwordx2 v[5:6], v[5:6], off offset:176
	v_lshlrev_b32_e32 v2, 1, v32
	v_lshlrev_b64 v[7:8], 2, v[2:3]
	v_lshlrev_b32_e32 v2, 1, v28
	v_add_co_u32_e64 v7, s[0:1], s8, v7
	v_addc_co_u32_e64 v8, s[0:1], v35, v8, s[0:1]
	global_load_dwordx2 v[7:8], v[7:8], off offset:176
	v_lshlrev_b64 v[9:10], 2, v[2:3]
	v_lshlrev_b32_e32 v2, 1, v26
	v_add_co_u32_e64 v9, s[0:1], s8, v9
	v_addc_co_u32_e64 v10, s[0:1], v35, v10, s[0:1]
	global_load_dwordx2 v[9:10], v[9:10], off offset:176
	;; [unrolled: 5-line block ×3, first 2 shown]
	v_lshlrev_b64 v[2:3], 2, v[2:3]
	v_add_co_u32_e64 v2, s[0:1], s8, v2
	v_addc_co_u32_e64 v3, s[0:1], v35, v3, s[0:1]
	global_load_dwordx2 v[2:3], v[2:3], off offset:176
	ds_read_b32 v30, v29
	ds_read_u16 v34, v31 offset:310
	ds_read_b32 v35, v4
	ds_read_b32 v36, v31 offset:616
	ds_read2_b32 v[13:14], v31 offset0:44 offset1:55
	ds_read2_b32 v[15:16], v31 offset0:110 offset1:121
	;; [unrolled: 1-line block ×6, first 2 shown]
	s_waitcnt lgkmcnt(5)
	v_lshrrev_b32_e32 v47, 16, v14
	v_lshrrev_b32_e32 v37, 16, v30
	;; [unrolled: 1-line block ×3, first 2 shown]
	s_waitcnt lgkmcnt(2)
	v_lshrrev_b32_e32 v40, 16, v19
	s_waitcnt lgkmcnt(1)
	v_lshrrev_b32_e32 v42, 16, v21
	v_lshrrev_b32_e32 v43, 16, v20
	;; [unrolled: 1-line block ×3, first 2 shown]
	s_movk_i32 s0, 0x3aee
	s_mov_b32 s1, 0xbaee
	v_lshrrev_b32_e32 v38, 16, v35
	v_lshrrev_b32_e32 v39, 16, v17
	;; [unrolled: 1-line block ×4, first 2 shown]
	s_waitcnt lgkmcnt(0)
	; wave barrier
	s_waitcnt vmcnt(4) lgkmcnt(0)
	v_mul_f16_sdwa v48, v5, v47 dst_sel:DWORD dst_unused:UNUSED_PAD src0_sel:WORD_1 src1_sel:DWORD
	v_fma_f16 v48, v5, v14, -v48
	v_mul_f16_sdwa v14, v5, v14 dst_sel:DWORD dst_unused:UNUSED_PAD src0_sel:WORD_1 src1_sel:DWORD
	v_fma_f16 v5, v5, v47, v14
	v_lshrrev_b32_e32 v14, 16, v15
	v_mul_f16_sdwa v47, v6, v14 dst_sel:DWORD dst_unused:UNUSED_PAD src0_sel:WORD_1 src1_sel:DWORD
	v_fma_f16 v47, v6, v15, -v47
	v_mul_f16_sdwa v15, v6, v15 dst_sel:DWORD dst_unused:UNUSED_PAD src0_sel:WORD_1 src1_sel:DWORD
	v_fma_f16 v6, v6, v14, v15
	v_lshrrev_b32_e32 v14, 16, v32
	s_waitcnt vmcnt(3)
	v_mul_f16_sdwa v15, v7, v14 dst_sel:DWORD dst_unused:UNUSED_PAD src0_sel:WORD_1 src1_sel:DWORD
	v_fma_f16 v15, v7, v32, -v15
	v_mul_f16_sdwa v32, v7, v32 dst_sel:DWORD dst_unused:UNUSED_PAD src0_sel:WORD_1 src1_sel:DWORD
	v_fma_f16 v7, v7, v14, v32
	v_lshrrev_b32_e32 v14, 16, v16
	v_mul_f16_sdwa v32, v8, v14 dst_sel:DWORD dst_unused:UNUSED_PAD src0_sel:WORD_1 src1_sel:DWORD
	v_fma_f16 v32, v8, v16, -v32
	v_mul_f16_sdwa v16, v8, v16 dst_sel:DWORD dst_unused:UNUSED_PAD src0_sel:WORD_1 src1_sel:DWORD
	v_fma_f16 v8, v8, v14, v16
	s_waitcnt vmcnt(2)
	v_mul_f16_sdwa v14, v34, v9 dst_sel:DWORD dst_unused:UNUSED_PAD src0_sel:DWORD src1_sel:WORD_1
	v_mul_f16_sdwa v16, v9, v33 dst_sel:DWORD dst_unused:UNUSED_PAD src0_sel:WORD_1 src1_sel:DWORD
	v_fma_f16 v14, v9, v33, -v14
	v_fma_f16 v9, v34, v9, v16
	v_mul_f16_sdwa v16, v40, v10 dst_sel:DWORD dst_unused:UNUSED_PAD src0_sel:DWORD src1_sel:WORD_1
	v_fma_f16 v16, v19, v10, -v16
	v_mul_f16_sdwa v19, v19, v10 dst_sel:DWORD dst_unused:UNUSED_PAD src0_sel:DWORD src1_sel:WORD_1
	v_fma_f16 v10, v40, v10, v19
	s_waitcnt vmcnt(1)
	v_mul_f16_sdwa v19, v42, v11 dst_sel:DWORD dst_unused:UNUSED_PAD src0_sel:DWORD src1_sel:WORD_1
	v_fma_f16 v19, v21, v11, -v19
	v_mul_f16_sdwa v21, v21, v11 dst_sel:DWORD dst_unused:UNUSED_PAD src0_sel:DWORD src1_sel:WORD_1
	v_fma_f16 v11, v42, v11, v21
	v_mul_f16_sdwa v21, v43, v12 dst_sel:DWORD dst_unused:UNUSED_PAD src0_sel:DWORD src1_sel:WORD_1
	v_fma_f16 v21, v20, v12, -v21
	v_mul_f16_sdwa v20, v20, v12 dst_sel:DWORD dst_unused:UNUSED_PAD src0_sel:DWORD src1_sel:WORD_1
	v_fma_f16 v12, v43, v12, v20
	s_waitcnt vmcnt(0)
	v_mul_f16_sdwa v20, v45, v2 dst_sel:DWORD dst_unused:UNUSED_PAD src0_sel:DWORD src1_sel:WORD_1
	v_fma_f16 v20, v22, v2, -v20
	v_mul_f16_sdwa v22, v22, v2 dst_sel:DWORD dst_unused:UNUSED_PAD src0_sel:DWORD src1_sel:WORD_1
	v_fma_f16 v2, v45, v2, v22
	v_mul_f16_sdwa v22, v46, v3 dst_sel:DWORD dst_unused:UNUSED_PAD src0_sel:DWORD src1_sel:WORD_1
	v_mul_f16_sdwa v33, v36, v3 dst_sel:DWORD dst_unused:UNUSED_PAD src0_sel:DWORD src1_sel:WORD_1
	v_add_f16_e32 v34, v48, v47
	v_fma_f16 v22, v36, v3, -v22
	v_fma_f16 v3, v46, v3, v33
	v_add_f16_e32 v33, v30, v48
	v_fma_f16 v30, v34, -0.5, v30
	v_sub_f16_e32 v34, v5, v6
	v_fma_f16 v36, v34, s0, v30
	v_fma_f16 v30, v34, s1, v30
	v_add_f16_e32 v34, v37, v5
	v_add_f16_e32 v5, v5, v6
	v_add_f16_e32 v34, v34, v6
	v_fma_f16 v5, v5, -0.5, v37
	v_sub_f16_e32 v6, v48, v47
	v_add_f16_e32 v40, v15, v32
	v_fma_f16 v37, v6, s1, v5
	v_fma_f16 v5, v6, s0, v5
	v_add_f16_e32 v6, v35, v15
	v_fma_f16 v35, v40, -0.5, v35
	v_sub_f16_e32 v40, v7, v8
	v_fma_f16 v42, v40, s0, v35
	v_fma_f16 v35, v40, s1, v35
	v_add_f16_e32 v40, v38, v7
	v_add_f16_e32 v7, v7, v8
	v_add_f16_e32 v6, v6, v32
	v_add_f16_e32 v40, v40, v8
	v_fma_f16 v7, v7, -0.5, v38
	v_sub_f16_e32 v8, v15, v32
	v_add_f16_e32 v32, v14, v16
	v_fma_f16 v15, v8, s1, v7
	v_fma_f16 v7, v8, s0, v7
	v_add_f16_e32 v8, v17, v14
	v_fma_f16 v17, v32, -0.5, v17
	v_sub_f16_e32 v32, v9, v10
	v_fma_f16 v38, v32, s0, v17
	v_fma_f16 v17, v32, s1, v17
	v_add_f16_e32 v32, v39, v9
	;; [unrolled: 14-line block ×4, first 2 shown]
	v_add_f16_e32 v2, v2, v3
	v_add_f16_e32 v33, v33, v47
	;; [unrolled: 1-line block ×3, first 2 shown]
	v_fma_f16 v2, v2, -0.5, v44
	v_sub_f16_e32 v3, v20, v22
	v_fma_f16 v20, v3, s1, v2
	v_fma_f16 v2, v3, s0, v2
	v_pack_b32_f16 v3, v33, v34
	ds_write_b32 v31, v3
	v_pack_b32_f16 v3, v36, v37
	ds_write_b32 v31, v3 offset:220
	v_pack_b32_f16 v3, v30, v5
	ds_write_b32 v31, v3 offset:440
	v_pack_b32_f16 v3, v6, v40
	v_pack_b32_f16 v5, v42, v15
	ds_write2_b32 v4, v3, v5 offset1:55
	v_pack_b32_f16 v3, v35, v7
	ds_write_b32 v4, v3 offset:440
	v_pack_b32_f16 v3, v8, v32
	v_pack_b32_f16 v6, v10, v18
	;; [unrolled: 1-line block ×3, first 2 shown]
	ds_write2_b32 v31, v3, v6 offset0:22 offset1:33
	v_pack_b32_f16 v3, v39, v19
	v_add_f16_e32 v12, v12, v22
	v_pack_b32_f16 v5, v17, v9
	ds_write2_b32 v31, v4, v3 offset0:77 offset1:88
	v_pack_b32_f16 v3, v16, v11
	ds_write2_b32 v31, v5, v3 offset0:132 offset1:143
	v_pack_b32_f16 v3, v12, v21
	ds_write_b32 v31, v3 offset:176
	v_pack_b32_f16 v3, v41, v20
	v_pack_b32_f16 v2, v13, v2
	ds_write_b32 v31, v3 offset:396
	ds_write_b32 v31, v2 offset:616
	s_waitcnt lgkmcnt(0)
	; wave barrier
	s_waitcnt lgkmcnt(0)
	s_and_saveexec_b64 s[0:1], vcc
	s_cbranch_execz .LBB0_16
; %bb.15:
	v_mad_u64_u32 v[2:3], s[0:1], s2, v23, 0
	v_add_co_u32_e32 v9, vcc, s12, v0
	v_mad_u64_u32 v[3:4], s[0:1], s3, v23, v[3:4]
	v_mov_b32_e32 v4, s13
	v_addc_co_u32_e32 v10, vcc, v4, v1, vcc
	ds_read2_b32 v[4:5], v29 offset1:11
	v_lshlrev_b64 v[0:1], 2, v[2:3]
	v_mad_u64_u32 v[2:3], s[0:1], s2, v27, 0
	v_add_co_u32_e32 v0, vcc, v9, v0
	s_waitcnt lgkmcnt(0)
	v_mad_u64_u32 v[6:7], s[0:1], s3, v27, v[3:4]
	v_addc_co_u32_e32 v1, vcc, v10, v1, vcc
	v_mad_u64_u32 v[7:8], s[0:1], s2, v28, 0
	v_mov_b32_e32 v3, v6
	global_store_dword v[0:1], v4, off
	v_lshlrev_b64 v[0:1], 2, v[2:3]
	v_mov_b32_e32 v2, v8
	v_add_co_u32_e32 v0, vcc, v9, v0
	v_addc_co_u32_e32 v1, vcc, v10, v1, vcc
	v_mad_u64_u32 v[2:3], s[0:1], s3, v28, v[2:3]
	global_store_dword v[0:1], v5, off
	v_mad_u64_u32 v[4:5], s[0:1], s2, v26, 0
	v_mov_b32_e32 v8, v2
	ds_read2_b32 v[0:1], v29 offset0:22 offset1:33
	v_mad_u64_u32 v[5:6], s[0:1], s3, v26, v[5:6]
	v_lshlrev_b64 v[2:3], 2, v[7:8]
	v_mad_u64_u32 v[6:7], s[0:1], s2, v25, 0
	v_add_co_u32_e32 v2, vcc, v9, v2
	v_addc_co_u32_e32 v3, vcc, v10, v3, vcc
	s_waitcnt lgkmcnt(0)
	global_store_dword v[2:3], v0, off
	v_mov_b32_e32 v0, v7
	v_lshlrev_b64 v[2:3], 2, v[4:5]
	v_mad_u64_u32 v[4:5], s[0:1], s3, v25, v[0:1]
	v_add_co_u32_e32 v2, vcc, v9, v2
	v_mov_b32_e32 v7, v4
	v_mad_u64_u32 v[4:5], s[0:1], s2, v24, 0
	v_addc_co_u32_e32 v3, vcc, v10, v3, vcc
	global_store_dword v[2:3], v1, off
	ds_read2_b32 v[0:1], v29 offset0:44 offset1:55
	v_lshlrev_b64 v[2:3], 2, v[6:7]
	v_mad_u64_u32 v[5:6], s[0:1], s3, v24, v[5:6]
	v_add_u32_e32 v8, 0x42, v23
	v_mad_u64_u32 v[6:7], s[0:1], s2, v8, 0
	v_add_co_u32_e32 v2, vcc, v9, v2
	v_addc_co_u32_e32 v3, vcc, v10, v3, vcc
	s_waitcnt lgkmcnt(0)
	global_store_dword v[2:3], v0, off
	v_mov_b32_e32 v0, v7
	v_lshlrev_b64 v[2:3], 2, v[4:5]
	v_mad_u64_u32 v[4:5], s[0:1], s3, v8, v[0:1]
	v_add_co_u32_e32 v2, vcc, v9, v2
	v_addc_co_u32_e32 v3, vcc, v10, v3, vcc
	v_mov_b32_e32 v7, v4
	global_store_dword v[2:3], v1, off
	v_lshlrev_b64 v[2:3], 2, v[6:7]
	v_add_u32_e32 v6, 0x4d, v23
	v_mad_u64_u32 v[4:5], s[0:1], s2, v6, 0
	ds_read2_b32 v[0:1], v29 offset0:66 offset1:77
	v_add_u32_e32 v8, 0x58, v23
	v_mad_u64_u32 v[5:6], s[0:1], s3, v6, v[5:6]
	v_mad_u64_u32 v[6:7], s[0:1], s2, v8, 0
	v_add_co_u32_e32 v2, vcc, v9, v2
	v_addc_co_u32_e32 v3, vcc, v10, v3, vcc
	s_waitcnt lgkmcnt(0)
	global_store_dword v[2:3], v0, off
	v_mov_b32_e32 v0, v7
	v_lshlrev_b64 v[2:3], 2, v[4:5]
	v_mad_u64_u32 v[4:5], s[0:1], s3, v8, v[0:1]
	v_add_co_u32_e32 v2, vcc, v9, v2
	v_addc_co_u32_e32 v3, vcc, v10, v3, vcc
	v_mov_b32_e32 v7, v4
	global_store_dword v[2:3], v1, off
	v_lshlrev_b64 v[2:3], 2, v[6:7]
	v_add_u32_e32 v6, 0x63, v23
	v_mad_u64_u32 v[4:5], s[0:1], s2, v6, 0
	ds_read2_b32 v[0:1], v29 offset0:88 offset1:99
	v_add_u32_e32 v8, 0x6e, v23
	v_mad_u64_u32 v[5:6], s[0:1], s3, v6, v[5:6]
	;; [unrolled: 18-line block ×4, first 2 shown]
	v_mad_u64_u32 v[6:7], s[0:1], s2, v8, 0
	v_add_co_u32_e32 v2, vcc, v9, v2
	v_addc_co_u32_e32 v3, vcc, v10, v3, vcc
	s_waitcnt lgkmcnt(0)
	global_store_dword v[2:3], v0, off
	v_mov_b32_e32 v0, v7
	v_lshlrev_b64 v[2:3], 2, v[4:5]
	v_mad_u64_u32 v[4:5], s[0:1], s3, v8, v[0:1]
	v_add_co_u32_e32 v2, vcc, v9, v2
	v_addc_co_u32_e32 v3, vcc, v10, v3, vcc
	global_store_dword v[2:3], v1, off
	v_mov_b32_e32 v7, v4
	ds_read_b32 v2, v29 offset:616
	v_lshlrev_b64 v[0:1], 2, v[6:7]
	v_add_co_u32_e32 v0, vcc, v9, v0
	v_addc_co_u32_e32 v1, vcc, v10, v1, vcc
	s_waitcnt lgkmcnt(0)
	global_store_dword v[0:1], v2, off
.LBB0_16:
	s_endpgm
	.section	.rodata,"a",@progbits
	.p2align	6, 0x0
	.amdhsa_kernel fft_rtc_fwd_len165_factors_11_5_3_wgs_55_tpt_11_half_ip_CI_sbrr_dirReg
		.amdhsa_group_segment_fixed_size 0
		.amdhsa_private_segment_fixed_size 0
		.amdhsa_kernarg_size 88
		.amdhsa_user_sgpr_count 6
		.amdhsa_user_sgpr_private_segment_buffer 1
		.amdhsa_user_sgpr_dispatch_ptr 0
		.amdhsa_user_sgpr_queue_ptr 0
		.amdhsa_user_sgpr_kernarg_segment_ptr 1
		.amdhsa_user_sgpr_dispatch_id 0
		.amdhsa_user_sgpr_flat_scratch_init 0
		.amdhsa_user_sgpr_private_segment_size 0
		.amdhsa_uses_dynamic_stack 0
		.amdhsa_system_sgpr_private_segment_wavefront_offset 0
		.amdhsa_system_sgpr_workgroup_id_x 1
		.amdhsa_system_sgpr_workgroup_id_y 0
		.amdhsa_system_sgpr_workgroup_id_z 0
		.amdhsa_system_sgpr_workgroup_info 0
		.amdhsa_system_vgpr_workitem_id 0
		.amdhsa_next_free_vgpr 78
		.amdhsa_next_free_sgpr 36
		.amdhsa_reserve_vcc 1
		.amdhsa_reserve_flat_scratch 0
		.amdhsa_float_round_mode_32 0
		.amdhsa_float_round_mode_16_64 0
		.amdhsa_float_denorm_mode_32 3
		.amdhsa_float_denorm_mode_16_64 3
		.amdhsa_dx10_clamp 1
		.amdhsa_ieee_mode 1
		.amdhsa_fp16_overflow 0
		.amdhsa_exception_fp_ieee_invalid_op 0
		.amdhsa_exception_fp_denorm_src 0
		.amdhsa_exception_fp_ieee_div_zero 0
		.amdhsa_exception_fp_ieee_overflow 0
		.amdhsa_exception_fp_ieee_underflow 0
		.amdhsa_exception_fp_ieee_inexact 0
		.amdhsa_exception_int_div_zero 0
	.end_amdhsa_kernel
	.text
.Lfunc_end0:
	.size	fft_rtc_fwd_len165_factors_11_5_3_wgs_55_tpt_11_half_ip_CI_sbrr_dirReg, .Lfunc_end0-fft_rtc_fwd_len165_factors_11_5_3_wgs_55_tpt_11_half_ip_CI_sbrr_dirReg
                                        ; -- End function
	.section	.AMDGPU.csdata,"",@progbits
; Kernel info:
; codeLenInByte = 10428
; NumSgprs: 40
; NumVgprs: 78
; ScratchSize: 0
; MemoryBound: 0
; FloatMode: 240
; IeeeMode: 1
; LDSByteSize: 0 bytes/workgroup (compile time only)
; SGPRBlocks: 4
; VGPRBlocks: 19
; NumSGPRsForWavesPerEU: 40
; NumVGPRsForWavesPerEU: 78
; Occupancy: 3
; WaveLimiterHint : 1
; COMPUTE_PGM_RSRC2:SCRATCH_EN: 0
; COMPUTE_PGM_RSRC2:USER_SGPR: 6
; COMPUTE_PGM_RSRC2:TRAP_HANDLER: 0
; COMPUTE_PGM_RSRC2:TGID_X_EN: 1
; COMPUTE_PGM_RSRC2:TGID_Y_EN: 0
; COMPUTE_PGM_RSRC2:TGID_Z_EN: 0
; COMPUTE_PGM_RSRC2:TIDIG_COMP_CNT: 0
	.type	__hip_cuid_c2414b9fd3653dad,@object ; @__hip_cuid_c2414b9fd3653dad
	.section	.bss,"aw",@nobits
	.globl	__hip_cuid_c2414b9fd3653dad
__hip_cuid_c2414b9fd3653dad:
	.byte	0                               ; 0x0
	.size	__hip_cuid_c2414b9fd3653dad, 1

	.ident	"AMD clang version 19.0.0git (https://github.com/RadeonOpenCompute/llvm-project roc-6.4.0 25133 c7fe45cf4b819c5991fe208aaa96edf142730f1d)"
	.section	".note.GNU-stack","",@progbits
	.addrsig
	.addrsig_sym __hip_cuid_c2414b9fd3653dad
	.amdgpu_metadata
---
amdhsa.kernels:
  - .args:
      - .actual_access:  read_only
        .address_space:  global
        .offset:         0
        .size:           8
        .value_kind:     global_buffer
      - .offset:         8
        .size:           8
        .value_kind:     by_value
      - .actual_access:  read_only
        .address_space:  global
        .offset:         16
        .size:           8
        .value_kind:     global_buffer
      - .actual_access:  read_only
        .address_space:  global
        .offset:         24
        .size:           8
        .value_kind:     global_buffer
      - .offset:         32
        .size:           8
        .value_kind:     by_value
      - .actual_access:  read_only
        .address_space:  global
        .offset:         40
        .size:           8
        .value_kind:     global_buffer
      - .actual_access:  read_only
        .address_space:  global
        .offset:         48
        .size:           8
        .value_kind:     global_buffer
      - .offset:         56
        .size:           4
        .value_kind:     by_value
      - .actual_access:  read_only
        .address_space:  global
        .offset:         64
        .size:           8
        .value_kind:     global_buffer
      - .actual_access:  read_only
        .address_space:  global
        .offset:         72
        .size:           8
        .value_kind:     global_buffer
      - .address_space:  global
        .offset:         80
        .size:           8
        .value_kind:     global_buffer
    .group_segment_fixed_size: 0
    .kernarg_segment_align: 8
    .kernarg_segment_size: 88
    .language:       OpenCL C
    .language_version:
      - 2
      - 0
    .max_flat_workgroup_size: 55
    .name:           fft_rtc_fwd_len165_factors_11_5_3_wgs_55_tpt_11_half_ip_CI_sbrr_dirReg
    .private_segment_fixed_size: 0
    .sgpr_count:     40
    .sgpr_spill_count: 0
    .symbol:         fft_rtc_fwd_len165_factors_11_5_3_wgs_55_tpt_11_half_ip_CI_sbrr_dirReg.kd
    .uniform_work_group_size: 1
    .uses_dynamic_stack: false
    .vgpr_count:     78
    .vgpr_spill_count: 0
    .wavefront_size: 64
amdhsa.target:   amdgcn-amd-amdhsa--gfx906
amdhsa.version:
  - 1
  - 2
...

	.end_amdgpu_metadata
